;; amdgpu-corpus repo=ROCm/rocFFT kind=compiled arch=gfx1201 opt=O3
	.text
	.amdgcn_target "amdgcn-amd-amdhsa--gfx1201"
	.amdhsa_code_object_version 6
	.protected	fft_rtc_fwd_len510_factors_17_2_3_5_wgs_238_tpt_34_halfLds_dp_ip_CI_unitstride_sbrr_R2C_dirReg ; -- Begin function fft_rtc_fwd_len510_factors_17_2_3_5_wgs_238_tpt_34_halfLds_dp_ip_CI_unitstride_sbrr_R2C_dirReg
	.globl	fft_rtc_fwd_len510_factors_17_2_3_5_wgs_238_tpt_34_halfLds_dp_ip_CI_unitstride_sbrr_R2C_dirReg
	.p2align	8
	.type	fft_rtc_fwd_len510_factors_17_2_3_5_wgs_238_tpt_34_halfLds_dp_ip_CI_unitstride_sbrr_R2C_dirReg,@function
fft_rtc_fwd_len510_factors_17_2_3_5_wgs_238_tpt_34_halfLds_dp_ip_CI_unitstride_sbrr_R2C_dirReg: ; @fft_rtc_fwd_len510_factors_17_2_3_5_wgs_238_tpt_34_halfLds_dp_ip_CI_unitstride_sbrr_R2C_dirReg
; %bb.0:
	s_load_b128 s[4:7], s[0:1], 0x0
	v_mul_u32_u24_e32 v1, 0x788, v0
	s_clause 0x1
	s_load_b64 s[8:9], s[0:1], 0x50
	s_load_b64 s[10:11], s[0:1], 0x18
	v_mov_b32_e32 v5, 0
	v_lshrrev_b32_e32 v1, 16, v1
	s_delay_alu instid0(VALU_DEP_1) | instskip(SKIP_3) | instid1(VALU_DEP_1)
	v_mad_co_u64_u32 v[1:2], null, ttmp9, 7, v[1:2]
	v_mov_b32_e32 v3, 0
	v_mov_b32_e32 v4, 0
	;; [unrolled: 1-line block ×4, first 2 shown]
	s_wait_kmcnt 0x0
	v_cmp_lt_u64_e64 s2, s[6:7], 2
	v_mov_b32_e32 v9, v1
	s_delay_alu instid0(VALU_DEP_2)
	s_and_b32 vcc_lo, exec_lo, s2
	s_cbranch_vccnz .LBB0_8
; %bb.1:
	s_load_b64 s[2:3], s[0:1], 0x10
	v_dual_mov_b32 v3, 0 :: v_dual_mov_b32 v8, v2
	v_dual_mov_b32 v4, 0 :: v_dual_mov_b32 v7, v1
	s_add_nc_u64 s[12:13], s[10:11], 8
	s_mov_b64 s[14:15], 1
	s_wait_kmcnt 0x0
	s_add_nc_u64 s[16:17], s[2:3], 8
	s_mov_b32 s3, 0
.LBB0_2:                                ; =>This Inner Loop Header: Depth=1
	s_load_b64 s[18:19], s[16:17], 0x0
                                        ; implicit-def: $vgpr9_vgpr10
	s_mov_b32 s2, exec_lo
	s_wait_kmcnt 0x0
	v_or_b32_e32 v6, s19, v8
	s_delay_alu instid0(VALU_DEP_1)
	v_cmpx_ne_u64_e32 0, v[5:6]
	s_wait_alu 0xfffe
	s_xor_b32 s20, exec_lo, s2
	s_cbranch_execz .LBB0_4
; %bb.3:                                ;   in Loop: Header=BB0_2 Depth=1
	s_cvt_f32_u32 s2, s18
	s_cvt_f32_u32 s21, s19
	s_sub_nc_u64 s[24:25], 0, s[18:19]
	s_wait_alu 0xfffe
	s_delay_alu instid0(SALU_CYCLE_1) | instskip(SKIP_1) | instid1(SALU_CYCLE_2)
	s_fmamk_f32 s2, s21, 0x4f800000, s2
	s_wait_alu 0xfffe
	v_s_rcp_f32 s2, s2
	s_delay_alu instid0(TRANS32_DEP_1) | instskip(SKIP_1) | instid1(SALU_CYCLE_2)
	s_mul_f32 s2, s2, 0x5f7ffffc
	s_wait_alu 0xfffe
	s_mul_f32 s21, s2, 0x2f800000
	s_wait_alu 0xfffe
	s_delay_alu instid0(SALU_CYCLE_2) | instskip(SKIP_1) | instid1(SALU_CYCLE_2)
	s_trunc_f32 s21, s21
	s_wait_alu 0xfffe
	s_fmamk_f32 s2, s21, 0xcf800000, s2
	s_cvt_u32_f32 s23, s21
	s_wait_alu 0xfffe
	s_delay_alu instid0(SALU_CYCLE_1) | instskip(SKIP_1) | instid1(SALU_CYCLE_2)
	s_cvt_u32_f32 s22, s2
	s_wait_alu 0xfffe
	s_mul_u64 s[26:27], s[24:25], s[22:23]
	s_wait_alu 0xfffe
	s_mul_hi_u32 s29, s22, s27
	s_mul_i32 s28, s22, s27
	s_mul_hi_u32 s2, s22, s26
	s_mul_i32 s30, s23, s26
	s_wait_alu 0xfffe
	s_add_nc_u64 s[28:29], s[2:3], s[28:29]
	s_mul_hi_u32 s21, s23, s26
	s_mul_hi_u32 s31, s23, s27
	s_add_co_u32 s2, s28, s30
	s_wait_alu 0xfffe
	s_add_co_ci_u32 s2, s29, s21
	s_mul_i32 s26, s23, s27
	s_add_co_ci_u32 s27, s31, 0
	s_wait_alu 0xfffe
	s_add_nc_u64 s[26:27], s[2:3], s[26:27]
	s_wait_alu 0xfffe
	v_add_co_u32 v2, s2, s22, s26
	s_delay_alu instid0(VALU_DEP_1) | instskip(SKIP_1) | instid1(VALU_DEP_1)
	s_cmp_lg_u32 s2, 0
	s_add_co_ci_u32 s23, s23, s27
	v_readfirstlane_b32 s22, v2
	s_wait_alu 0xfffe
	s_delay_alu instid0(VALU_DEP_1)
	s_mul_u64 s[24:25], s[24:25], s[22:23]
	s_wait_alu 0xfffe
	s_mul_hi_u32 s27, s22, s25
	s_mul_i32 s26, s22, s25
	s_mul_hi_u32 s2, s22, s24
	s_mul_i32 s28, s23, s24
	s_wait_alu 0xfffe
	s_add_nc_u64 s[26:27], s[2:3], s[26:27]
	s_mul_hi_u32 s21, s23, s24
	s_mul_hi_u32 s22, s23, s25
	s_wait_alu 0xfffe
	s_add_co_u32 s2, s26, s28
	s_add_co_ci_u32 s2, s27, s21
	s_mul_i32 s24, s23, s25
	s_add_co_ci_u32 s25, s22, 0
	s_wait_alu 0xfffe
	s_add_nc_u64 s[24:25], s[2:3], s[24:25]
	s_wait_alu 0xfffe
	v_add_co_u32 v2, s2, v2, s24
	s_delay_alu instid0(VALU_DEP_1) | instskip(SKIP_1) | instid1(VALU_DEP_1)
	s_cmp_lg_u32 s2, 0
	s_add_co_ci_u32 s2, s23, s25
	v_mul_hi_u32 v6, v7, v2
	s_wait_alu 0xfffe
	v_mad_co_u64_u32 v[9:10], null, v7, s2, 0
	v_mad_co_u64_u32 v[11:12], null, v8, v2, 0
	;; [unrolled: 1-line block ×3, first 2 shown]
	s_delay_alu instid0(VALU_DEP_3) | instskip(SKIP_1) | instid1(VALU_DEP_4)
	v_add_co_u32 v2, vcc_lo, v6, v9
	s_wait_alu 0xfffd
	v_add_co_ci_u32_e32 v6, vcc_lo, 0, v10, vcc_lo
	s_delay_alu instid0(VALU_DEP_2) | instskip(SKIP_1) | instid1(VALU_DEP_2)
	v_add_co_u32 v2, vcc_lo, v2, v11
	s_wait_alu 0xfffd
	v_add_co_ci_u32_e32 v2, vcc_lo, v6, v12, vcc_lo
	s_wait_alu 0xfffd
	v_add_co_ci_u32_e32 v6, vcc_lo, 0, v14, vcc_lo
	s_delay_alu instid0(VALU_DEP_2) | instskip(SKIP_1) | instid1(VALU_DEP_2)
	v_add_co_u32 v2, vcc_lo, v2, v13
	s_wait_alu 0xfffd
	v_add_co_ci_u32_e32 v6, vcc_lo, 0, v6, vcc_lo
	s_delay_alu instid0(VALU_DEP_2) | instskip(SKIP_1) | instid1(VALU_DEP_3)
	v_mul_lo_u32 v11, s19, v2
	v_mad_co_u64_u32 v[9:10], null, s18, v2, 0
	v_mul_lo_u32 v12, s18, v6
	s_delay_alu instid0(VALU_DEP_2) | instskip(NEXT) | instid1(VALU_DEP_2)
	v_sub_co_u32 v9, vcc_lo, v7, v9
	v_add3_u32 v10, v10, v12, v11
	s_delay_alu instid0(VALU_DEP_1) | instskip(SKIP_1) | instid1(VALU_DEP_1)
	v_sub_nc_u32_e32 v11, v8, v10
	s_wait_alu 0xfffd
	v_subrev_co_ci_u32_e64 v11, s2, s19, v11, vcc_lo
	v_add_co_u32 v12, s2, v2, 2
	s_wait_alu 0xf1ff
	v_add_co_ci_u32_e64 v13, s2, 0, v6, s2
	v_sub_co_u32 v14, s2, v9, s18
	v_sub_co_ci_u32_e32 v10, vcc_lo, v8, v10, vcc_lo
	s_wait_alu 0xf1ff
	v_subrev_co_ci_u32_e64 v11, s2, 0, v11, s2
	s_delay_alu instid0(VALU_DEP_3) | instskip(NEXT) | instid1(VALU_DEP_3)
	v_cmp_le_u32_e32 vcc_lo, s18, v14
	v_cmp_eq_u32_e64 s2, s19, v10
	s_wait_alu 0xfffd
	v_cndmask_b32_e64 v14, 0, -1, vcc_lo
	v_cmp_le_u32_e32 vcc_lo, s19, v11
	s_wait_alu 0xfffd
	v_cndmask_b32_e64 v15, 0, -1, vcc_lo
	v_cmp_le_u32_e32 vcc_lo, s18, v9
	;; [unrolled: 3-line block ×3, first 2 shown]
	s_wait_alu 0xfffd
	v_cndmask_b32_e64 v16, 0, -1, vcc_lo
	v_cmp_eq_u32_e32 vcc_lo, s19, v11
	s_wait_alu 0xf1ff
	s_delay_alu instid0(VALU_DEP_2)
	v_cndmask_b32_e64 v9, v16, v9, s2
	s_wait_alu 0xfffd
	v_cndmask_b32_e32 v11, v15, v14, vcc_lo
	v_add_co_u32 v14, vcc_lo, v2, 1
	s_wait_alu 0xfffd
	v_add_co_ci_u32_e32 v15, vcc_lo, 0, v6, vcc_lo
	s_delay_alu instid0(VALU_DEP_3) | instskip(SKIP_1) | instid1(VALU_DEP_2)
	v_cmp_ne_u32_e32 vcc_lo, 0, v11
	s_wait_alu 0xfffd
	v_dual_cndmask_b32 v10, v15, v13 :: v_dual_cndmask_b32 v11, v14, v12
	v_cmp_ne_u32_e32 vcc_lo, 0, v9
	s_wait_alu 0xfffd
	s_delay_alu instid0(VALU_DEP_2) | instskip(NEXT) | instid1(VALU_DEP_3)
	v_cndmask_b32_e32 v10, v6, v10, vcc_lo
	v_cndmask_b32_e32 v9, v2, v11, vcc_lo
.LBB0_4:                                ;   in Loop: Header=BB0_2 Depth=1
	s_wait_alu 0xfffe
	s_and_not1_saveexec_b32 s2, s20
	s_cbranch_execz .LBB0_6
; %bb.5:                                ;   in Loop: Header=BB0_2 Depth=1
	v_cvt_f32_u32_e32 v2, s18
	s_sub_co_i32 s20, 0, s18
	s_delay_alu instid0(VALU_DEP_1) | instskip(NEXT) | instid1(TRANS32_DEP_1)
	v_rcp_iflag_f32_e32 v2, v2
	v_mul_f32_e32 v2, 0x4f7ffffe, v2
	s_delay_alu instid0(VALU_DEP_1) | instskip(SKIP_1) | instid1(VALU_DEP_1)
	v_cvt_u32_f32_e32 v2, v2
	s_wait_alu 0xfffe
	v_mul_lo_u32 v6, s20, v2
	s_delay_alu instid0(VALU_DEP_1) | instskip(NEXT) | instid1(VALU_DEP_1)
	v_mul_hi_u32 v6, v2, v6
	v_add_nc_u32_e32 v2, v2, v6
	s_delay_alu instid0(VALU_DEP_1) | instskip(NEXT) | instid1(VALU_DEP_1)
	v_mul_hi_u32 v2, v7, v2
	v_mul_lo_u32 v6, v2, s18
	v_add_nc_u32_e32 v9, 1, v2
	s_delay_alu instid0(VALU_DEP_2) | instskip(NEXT) | instid1(VALU_DEP_1)
	v_sub_nc_u32_e32 v6, v7, v6
	v_subrev_nc_u32_e32 v10, s18, v6
	v_cmp_le_u32_e32 vcc_lo, s18, v6
	s_wait_alu 0xfffd
	s_delay_alu instid0(VALU_DEP_2) | instskip(SKIP_2) | instid1(VALU_DEP_3)
	v_cndmask_b32_e32 v6, v6, v10, vcc_lo
	v_mov_b32_e32 v10, v5
	v_cndmask_b32_e32 v2, v2, v9, vcc_lo
	v_cmp_le_u32_e32 vcc_lo, s18, v6
	s_delay_alu instid0(VALU_DEP_2) | instskip(SKIP_1) | instid1(VALU_DEP_1)
	v_add_nc_u32_e32 v9, 1, v2
	s_wait_alu 0xfffd
	v_cndmask_b32_e32 v9, v2, v9, vcc_lo
.LBB0_6:                                ;   in Loop: Header=BB0_2 Depth=1
	s_wait_alu 0xfffe
	s_or_b32 exec_lo, exec_lo, s2
	s_load_b64 s[20:21], s[12:13], 0x0
	v_mul_lo_u32 v2, v10, s18
	v_mul_lo_u32 v6, v9, s19
	v_mad_co_u64_u32 v[11:12], null, v9, s18, 0
	s_add_nc_u64 s[14:15], s[14:15], 1
	s_add_nc_u64 s[12:13], s[12:13], 8
	s_wait_alu 0xfffe
	v_cmp_ge_u64_e64 s2, s[14:15], s[6:7]
	s_add_nc_u64 s[16:17], s[16:17], 8
	s_delay_alu instid0(VALU_DEP_2) | instskip(NEXT) | instid1(VALU_DEP_3)
	v_add3_u32 v2, v12, v6, v2
	v_sub_co_u32 v6, vcc_lo, v7, v11
	s_wait_alu 0xfffd
	s_delay_alu instid0(VALU_DEP_2) | instskip(SKIP_3) | instid1(VALU_DEP_2)
	v_sub_co_ci_u32_e32 v2, vcc_lo, v8, v2, vcc_lo
	s_and_b32 vcc_lo, exec_lo, s2
	s_wait_kmcnt 0x0
	v_mul_lo_u32 v7, s21, v6
	v_mul_lo_u32 v2, s20, v2
	v_mad_co_u64_u32 v[3:4], null, s20, v6, v[3:4]
	s_delay_alu instid0(VALU_DEP_1)
	v_add3_u32 v4, v7, v4, v2
	s_wait_alu 0xfffe
	s_cbranch_vccnz .LBB0_8
; %bb.7:                                ;   in Loop: Header=BB0_2 Depth=1
	v_dual_mov_b32 v7, v9 :: v_dual_mov_b32 v8, v10
	s_branch .LBB0_2
.LBB0_8:
	v_mul_hi_u32 v2, 0x24924925, v1
	s_lshl_b64 s[2:3], s[6:7], 3
	s_load_b64 s[0:1], s[0:1], 0x20
	s_add_nc_u64 s[2:3], s[10:11], s[2:3]
	s_load_b64 s[2:3], s[2:3], 0x0
	s_delay_alu instid0(VALU_DEP_1) | instskip(NEXT) | instid1(VALU_DEP_1)
	v_sub_nc_u32_e32 v5, v1, v2
	v_lshrrev_b32_e32 v5, 1, v5
	s_delay_alu instid0(VALU_DEP_1) | instskip(SKIP_3) | instid1(VALU_DEP_3)
	v_add_nc_u32_e32 v2, v5, v2
	v_mul_hi_u32 v5, 0x7878788, v0
	s_wait_kmcnt 0x0
	v_cmp_gt_u64_e32 vcc_lo, s[0:1], v[9:10]
	v_lshrrev_b32_e32 v2, 2, v2
	v_mul_lo_u32 v7, s2, v10
	v_mul_lo_u32 v8, s3, v9
	s_delay_alu instid0(VALU_DEP_3) | instskip(SKIP_2) | instid1(VALU_DEP_1)
	v_mul_lo_u32 v6, v2, 7
	v_mad_co_u64_u32 v[2:3], null, s2, v9, v[3:4]
	v_mul_u32_u24_e32 v4, 34, v5
	v_sub_nc_u32_e32 v76, v0, v4
	s_delay_alu instid0(VALU_DEP_4) | instskip(NEXT) | instid1(VALU_DEP_4)
	v_sub_nc_u32_e32 v1, v1, v6
	v_add3_u32 v3, v8, v3, v7
	s_delay_alu instid0(VALU_DEP_3) | instskip(NEXT) | instid1(VALU_DEP_3)
	v_lshlrev_b32_e32 v209, 4, v76
	v_mul_u32_u24_e32 v1, 0x1ff, v1
	s_delay_alu instid0(VALU_DEP_3) | instskip(NEXT) | instid1(VALU_DEP_2)
	v_lshlrev_b64_e32 v[78:79], 4, v[2:3]
	v_lshlrev_b32_e32 v211, 4, v1
	s_and_saveexec_b32 s1, vcc_lo
	s_cbranch_execz .LBB0_10
; %bb.9:
	v_mov_b32_e32 v77, 0
	s_delay_alu instid0(VALU_DEP_3) | instskip(SKIP_2) | instid1(VALU_DEP_3)
	v_add_co_u32 v2, s0, s8, v78
	s_wait_alu 0xf1ff
	v_add_co_ci_u32_e64 v3, s0, s9, v79, s0
	v_lshlrev_b64_e32 v[0:1], 4, v[76:77]
	v_add3_u32 v60, 0, v211, v209
	s_delay_alu instid0(VALU_DEP_2) | instskip(SKIP_1) | instid1(VALU_DEP_3)
	v_add_co_u32 v56, s0, v2, v0
	s_wait_alu 0xf1ff
	v_add_co_ci_u32_e64 v57, s0, v3, v1, s0
	s_clause 0xe
	global_load_b128 v[0:3], v[56:57], off
	global_load_b128 v[4:7], v[56:57], off offset:544
	global_load_b128 v[8:11], v[56:57], off offset:1088
	;; [unrolled: 1-line block ×14, first 2 shown]
	s_wait_loadcnt 0xe
	ds_store_b128 v60, v[0:3]
	s_wait_loadcnt 0xd
	ds_store_b128 v60, v[4:7] offset:544
	s_wait_loadcnt 0xc
	ds_store_b128 v60, v[8:11] offset:1088
	s_wait_loadcnt 0xb
	ds_store_b128 v60, v[12:15] offset:1632
	s_wait_loadcnt 0xa
	ds_store_b128 v60, v[16:19] offset:2176
	s_wait_loadcnt 0x9
	ds_store_b128 v60, v[20:23] offset:2720
	s_wait_loadcnt 0x8
	ds_store_b128 v60, v[24:27] offset:3264
	s_wait_loadcnt 0x7
	ds_store_b128 v60, v[28:31] offset:3808
	s_wait_loadcnt 0x6
	ds_store_b128 v60, v[32:35] offset:4352
	s_wait_loadcnt 0x5
	ds_store_b128 v60, v[36:39] offset:4896
	s_wait_loadcnt 0x4
	ds_store_b128 v60, v[40:43] offset:5440
	s_wait_loadcnt 0x3
	ds_store_b128 v60, v[44:47] offset:5984
	s_wait_loadcnt 0x2
	ds_store_b128 v60, v[48:51] offset:6528
	s_wait_loadcnt 0x1
	ds_store_b128 v60, v[52:55] offset:7072
	s_wait_loadcnt 0x0
	ds_store_b128 v60, v[56:59] offset:7616
.LBB0_10:
	s_wait_alu 0xfffe
	s_or_b32 exec_lo, exec_lo, s1
	v_add_nc_u32_e32 v0, 0, v209
	global_wb scope:SCOPE_SE
	s_wait_dscnt 0x0
	s_barrier_signal -1
	s_barrier_wait -1
	global_inv scope:SCOPE_SE
	v_add_nc_u32_e32 v77, v0, v211
	v_add_nc_u32_e32 v210, 0, v211
	s_mov_b32 s2, 0x2a9d6da3
	s_mov_b32 s14, 0x7c9e640b
	;; [unrolled: 1-line block ×3, first 2 shown]
	ds_load_b128 v[8:11], v77 offset:7680
	ds_load_b128 v[24:27], v77 offset:480
	v_add_nc_u32_e32 v208, v210, v209
	s_mov_b32 s15, 0xbfeca52d
	s_mov_b32 s6, 0x75d4884
	;; [unrolled: 1-line block ×4, first 2 shown]
	ds_load_b128 v[12:15], v208
	ds_load_b128 v[16:19], v77 offset:7200
	ds_load_b128 v[28:31], v77 offset:960
	;; [unrolled: 1-line block ×4, first 2 shown]
	s_mov_b32 s10, 0x2b2883cd
	s_mov_b32 s7, 0x3fe7a5f6
	;; [unrolled: 1-line block ×5, first 2 shown]
	ds_load_b128 v[32:35], v77 offset:6240
	ds_load_b128 v[44:47], v77 offset:1920
	s_mov_b32 s20, 0x3259b75e
	s_mov_b32 s16, 0x6ed5f1bb
	;; [unrolled: 1-line block ×5, first 2 shown]
	s_wait_dscnt 0x7
	v_add_f64_e64 v[142:143], v[26:27], -v[10:11]
	v_add_f64_e64 v[144:145], v[24:25], -v[8:9]
	v_add_f64_e32 v[192:193], v[24:25], v[8:9]
	v_add_f64_e32 v[198:199], v[26:27], v[10:11]
	s_mov_b32 s13, 0x3fc7851a
	ds_load_b128 v[48:51], v77 offset:2400
	ds_load_b128 v[40:43], v77 offset:5760
	s_mov_b32 s22, 0x7faef3
	s_wait_dscnt 0x6
	v_add_f64_e64 v[86:87], v[30:31], -v[18:19]
	v_add_f64_e64 v[80:81], v[28:29], -v[16:17]
	s_wait_dscnt 0x4
	v_add_f64_e64 v[104:105], v[38:39], -v[22:23]
	v_add_f64_e64 v[82:83], v[36:37], -v[20:21]
	v_add_f64_e32 v[84:85], v[28:29], v[16:17]
	v_add_f64_e32 v[108:109], v[30:31], v[18:19]
	v_add_f64_e32 v[88:89], v[36:37], v[20:21]
	v_add_f64_e32 v[114:115], v[38:39], v[22:23]
	s_wait_dscnt 0x2
	v_add_f64_e64 v[112:113], v[46:47], -v[34:35]
	v_add_f64_e64 v[90:91], v[44:45], -v[32:33]
	s_mov_b32 s24, 0x923c349f
	s_mov_b32 s23, 0xbfef7484
	;; [unrolled: 1-line block ×5, first 2 shown]
	v_add_f64_e32 v[92:93], v[44:45], v[32:33]
	v_add_f64_e32 v[120:121], v[46:47], v[34:35]
	s_mov_b32 s28, 0x4363dd80
	s_wait_dscnt 0x0
	v_add_f64_e64 v[118:119], v[50:51], -v[42:43]
	v_add_f64_e64 v[94:95], v[48:49], -v[40:41]
	s_mov_b32 s30, 0xc61f0d01
	s_mov_b32 s29, 0x3fe0d888
	;; [unrolled: 1-line block ×4, first 2 shown]
	s_wait_alu 0xfffe
	s_mov_b32 s34, s2
	v_add_f64_e32 v[96:97], v[48:49], v[40:41]
	v_add_f64_e32 v[124:125], v[50:51], v[42:43]
	s_mov_b32 s36, 0x910ea3b9
	s_mov_b32 s38, 0x5d8e7cdc
	;; [unrolled: 1-line block ×4, first 2 shown]
	v_mul_f64_e32 v[200:201], s[2:3], v[142:143]
	v_mul_f64_e32 v[202:203], s[2:3], v[144:145]
	;; [unrolled: 1-line block ×4, first 2 shown]
	s_mov_b32 s44, 0x370991
	s_mov_b32 s41, 0x3feca52d
	;; [unrolled: 1-line block ×3, first 2 shown]
	v_mul_f64_e32 v[148:149], s[26:27], v[86:87]
	v_mul_f64_e32 v[150:151], s[26:27], v[80:81]
	;; [unrolled: 1-line block ×12, first 2 shown]
	s_mov_b32 s40, s14
	s_mov_b32 s47, 0x3fd71e95
	s_mov_b32 s49, 0xbfe0d888
	s_mov_b32 s46, s38
	s_mov_b32 s48, s28
	s_mov_b32 s33, exec_lo
	v_mul_f64_e32 v[176:177], s[28:29], v[118:119]
	v_mul_f64_e32 v[182:183], s[28:29], v[94:95]
	;; [unrolled: 1-line block ×4, first 2 shown]
	v_fma_f64 v[0:1], v[192:193], s[6:7], v[200:201]
	v_fma_f64 v[2:3], v[198:199], s[6:7], -v[202:203]
	v_fma_f64 v[4:5], v[192:193], s[10:11], v[204:205]
	v_fma_f64 v[6:7], v[198:199], s[10:11], -v[206:207]
	;; [unrolled: 2-line block ×10, first 2 shown]
	v_add_f64_e32 v[0:1], v[12:13], v[0:1]
	v_add_f64_e32 v[2:3], v[14:15], v[2:3]
	;; [unrolled: 1-line block ×4, first 2 shown]
	s_delay_alu instid0(VALU_DEP_4) | instskip(NEXT) | instid1(VALU_DEP_4)
	v_add_f64_e32 v[0:1], v[52:53], v[0:1]
	v_add_f64_e32 v[2:3], v[54:55], v[2:3]
	s_delay_alu instid0(VALU_DEP_4) | instskip(NEXT) | instid1(VALU_DEP_4)
	v_add_f64_e32 v[4:5], v[56:57], v[4:5]
	v_add_f64_e32 v[6:7], v[58:59], v[6:7]
	ds_load_b128 v[52:55], v77 offset:5280
	ds_load_b128 v[56:59], v77 offset:2880
	;; [unrolled: 1-line block ×4, first 2 shown]
	s_wait_dscnt 0x2
	v_add_f64_e64 v[122:123], v[58:59], -v[54:55]
	v_add_f64_e64 v[98:99], v[56:57], -v[52:53]
	v_add_f64_e32 v[100:101], v[56:57], v[52:53]
	v_add_f64_e32 v[128:129], v[58:59], v[54:55]
	s_wait_dscnt 0x0
	v_add_f64_e64 v[126:127], v[66:67], -v[62:63]
	v_add_f64_e64 v[102:103], v[64:65], -v[60:61]
	v_add_f64_e32 v[132:133], v[66:67], v[62:63]
	v_add_f64_e32 v[0:1], v[68:69], v[0:1]
	;; [unrolled: 1-line block ×5, first 2 shown]
	ds_load_b128 v[72:75], v77 offset:3840
	ds_load_b128 v[68:71], v77 offset:4320
	global_wb scope:SCOPE_SE
	s_wait_dscnt 0x0
	s_barrier_signal -1
	s_barrier_wait -1
	global_inv scope:SCOPE_SE
	v_mul_f64_e32 v[180:181], s[24:25], v[122:123]
	v_mul_f64_e32 v[186:187], s[24:25], v[98:99]
	;; [unrolled: 1-line block ×8, first 2 shown]
	v_add_f64_e32 v[0:1], v[106:107], v[0:1]
	v_add_f64_e32 v[2:3], v[110:111], v[2:3]
	v_add_f64_e32 v[4:5], v[116:117], v[4:5]
	v_add_f64_e32 v[6:7], v[130:131], v[6:7]
	v_add_f64_e32 v[106:107], v[64:65], v[60:61]
	v_add_f64_e64 v[130:131], v[74:75], -v[70:71]
	v_add_f64_e64 v[110:111], v[72:73], -v[68:69]
	v_add_f64_e32 v[116:117], v[72:73], v[68:69]
	v_fma_f64 v[212:213], v[100:101], s[30:31], v[180:181]
	v_fma_f64 v[214:215], v[128:129], s[30:31], -v[186:187]
	v_fma_f64 v[216:217], v[100:101], s[44:45], v[166:167]
	v_fma_f64 v[218:219], v[128:129], s[44:45], -v[172:173]
	v_fma_f64 v[222:223], v[132:133], s[10:11], -v[190:191]
	;; [unrolled: 1-line block ×3, first 2 shown]
	v_add_f64_e32 v[0:1], v[134:135], v[0:1]
	v_add_f64_e32 v[2:3], v[178:179], v[2:3]
	;; [unrolled: 1-line block ×5, first 2 shown]
	v_mul_f64_e32 v[194:195], s[46:47], v[130:131]
	v_mul_f64_e32 v[196:197], s[46:47], v[110:111]
	;; [unrolled: 1-line block ×4, first 2 shown]
	v_fma_f64 v[220:221], v[106:107], s[10:11], v[188:189]
	v_fma_f64 v[224:225], v[106:107], s[20:21], v[170:171]
	v_add_f64_e32 v[0:1], v[212:213], v[0:1]
	v_add_f64_e32 v[2:3], v[214:215], v[2:3]
	;; [unrolled: 1-line block ×4, first 2 shown]
	v_fma_f64 v[212:213], v[116:117], s[44:45], v[194:195]
	v_fma_f64 v[214:215], v[134:135], s[44:45], -v[196:197]
	v_fma_f64 v[216:217], v[116:117], s[36:37], v[178:179]
	v_fma_f64 v[218:219], v[134:135], s[36:37], -v[184:185]
	v_add_f64_e32 v[0:1], v[220:221], v[0:1]
	v_add_f64_e32 v[2:3], v[222:223], v[2:3]
	;; [unrolled: 1-line block ×4, first 2 shown]
	s_delay_alu instid0(VALU_DEP_4) | instskip(NEXT) | instid1(VALU_DEP_4)
	v_add_f64_e32 v[4:5], v[212:213], v[0:1]
	v_add_f64_e32 v[6:7], v[214:215], v[2:3]
	s_delay_alu instid0(VALU_DEP_4) | instskip(NEXT) | instid1(VALU_DEP_4)
	v_add_f64_e32 v[0:1], v[216:217], v[220:221]
	v_add_f64_e32 v[2:3], v[218:219], v[222:223]
	v_cmpx_gt_u32_e32 30, v76
	s_cbranch_execz .LBB0_12
; %bb.11:
	v_add_f64_e32 v[24:25], v[12:13], v[24:25]
	v_add_f64_e32 v[26:27], v[14:15], v[26:27]
	s_mov_b32 s53, 0xbfeec746
	s_mov_b32 s52, s24
	;; [unrolled: 1-line block ×6, first 2 shown]
	v_mul_f64_e32 v[214:215], s[20:21], v[134:135]
	v_mul_f64_e32 v[216:217], s[50:51], v[130:131]
	;; [unrolled: 1-line block ×18, first 2 shown]
	v_add_f64_e32 v[24:25], v[24:25], v[28:29]
	v_add_f64_e32 v[26:27], v[26:27], v[30:31]
	v_mul_f64_e32 v[30:31], s[30:31], v[198:199]
	v_mul_f64_e32 v[28:29], s[16:17], v[198:199]
	s_delay_alu instid0(VALU_DEP_4) | instskip(NEXT) | instid1(VALU_DEP_4)
	v_add_f64_e32 v[24:25], v[24:25], v[36:37]
	v_add_f64_e32 v[26:27], v[26:27], v[38:39]
	s_delay_alu instid0(VALU_DEP_2) | instskip(NEXT) | instid1(VALU_DEP_2)
	v_add_f64_e32 v[24:25], v[24:25], v[44:45]
	v_add_f64_e32 v[26:27], v[26:27], v[46:47]
	s_delay_alu instid0(VALU_DEP_2) | instskip(NEXT) | instid1(VALU_DEP_2)
	v_add_f64_e32 v[24:25], v[24:25], v[48:49]
	v_add_f64_e32 v[26:27], v[26:27], v[50:51]
	v_mul_f64_e32 v[48:49], s[42:43], v[142:143]
	v_mul_f64_e32 v[50:51], s[48:49], v[142:143]
	s_delay_alu instid0(VALU_DEP_4) | instskip(NEXT) | instid1(VALU_DEP_4)
	v_add_f64_e32 v[24:25], v[24:25], v[56:57]
	v_add_f64_e32 v[26:27], v[26:27], v[58:59]
	v_mul_f64_e32 v[56:57], s[38:39], v[142:143]
	v_mul_f64_e32 v[58:59], s[52:53], v[142:143]
	s_delay_alu instid0(VALU_DEP_4) | instskip(NEXT) | instid1(VALU_DEP_4)
	v_add_f64_e32 v[24:25], v[24:25], v[64:65]
	v_add_f64_e32 v[26:27], v[26:27], v[66:67]
	s_delay_alu instid0(VALU_DEP_2) | instskip(NEXT) | instid1(VALU_DEP_2)
	v_add_f64_e32 v[24:25], v[24:25], v[72:73]
	v_add_f64_e32 v[26:27], v[26:27], v[74:75]
	s_delay_alu instid0(VALU_DEP_2) | instskip(NEXT) | instid1(VALU_DEP_2)
	v_add_f64_e32 v[24:25], v[24:25], v[68:69]
	v_add_f64_e32 v[26:27], v[26:27], v[70:71]
	v_fma_f64 v[68:69], v[192:193], s[44:45], v[56:57]
	v_fma_f64 v[56:57], v[192:193], s[44:45], -v[56:57]
	v_fma_f64 v[70:71], v[192:193], s[30:31], v[58:59]
	v_fma_f64 v[58:59], v[192:193], s[30:31], -v[58:59]
	v_add_f64_e32 v[24:25], v[24:25], v[60:61]
	v_add_f64_e32 v[26:27], v[26:27], v[62:63]
	v_fma_f64 v[60:61], v[192:193], s[22:23], v[48:49]
	v_fma_f64 v[48:49], v[192:193], s[22:23], -v[48:49]
	v_fma_f64 v[62:63], v[192:193], s[36:37], v[50:51]
	v_fma_f64 v[50:51], v[192:193], s[36:37], -v[50:51]
	v_add_f64_e32 v[68:69], v[12:13], v[68:69]
	v_add_f64_e32 v[58:59], v[12:13], v[58:59]
	;; [unrolled: 1-line block ×4, first 2 shown]
	v_mul_f64_e32 v[52:53], s[18:19], v[142:143]
	v_mul_f64_e32 v[54:55], s[26:27], v[142:143]
	v_add_f64_e32 v[60:61], v[12:13], v[60:61]
	v_add_f64_e32 v[48:49], v[12:13], v[48:49]
	;; [unrolled: 1-line block ×6, first 2 shown]
	v_fma_f64 v[42:43], v[144:145], s[24:25], v[30:31]
	s_wait_alu 0xfffe
	v_fma_f64 v[40:41], v[144:145], s[0:1], v[28:29]
	v_fma_f64 v[28:29], v[144:145], s[18:19], v[28:29]
	v_fma_f64 v[30:31], v[144:145], s[52:53], v[30:31]
	v_fma_f64 v[64:65], v[192:193], s[16:17], v[52:53]
	v_fma_f64 v[52:53], v[192:193], s[16:17], -v[52:53]
	v_fma_f64 v[66:67], v[192:193], s[20:21], v[54:55]
	v_fma_f64 v[54:55], v[192:193], s[20:21], -v[54:55]
	v_add_f64_e32 v[24:25], v[24:25], v[32:33]
	v_add_f64_e32 v[26:27], v[26:27], v[34:35]
	v_mul_f64_e32 v[32:33], s[20:21], v[198:199]
	v_mul_f64_e32 v[34:35], s[44:45], v[198:199]
	v_add_f64_e32 v[142:143], v[14:15], v[42:43]
	v_add_f64_e32 v[74:75], v[14:15], v[40:41]
	v_add_f64_e32 v[64:65], v[12:13], v[64:65]
	v_add_f64_e32 v[40:41], v[14:15], v[28:29]
	v_add_f64_e32 v[52:53], v[12:13], v[52:53]
	v_add_f64_e32 v[66:67], v[12:13], v[66:67]
	v_add_f64_e32 v[20:21], v[24:25], v[20:21]
	v_add_f64_e32 v[22:23], v[26:27], v[22:23]
	v_mul_f64_e32 v[24:25], s[22:23], v[198:199]
	v_mul_f64_e32 v[26:27], s[36:37], v[198:199]
	v_fma_f64 v[44:45], v[144:145], s[50:51], v[32:33]
	v_fma_f64 v[32:33], v[144:145], s[26:27], v[32:33]
	;; [unrolled: 1-line block ×4, first 2 shown]
	v_add_f64_e32 v[16:17], v[20:21], v[16:17]
	v_add_f64_e32 v[18:19], v[22:23], v[18:19]
	v_mul_f64_e32 v[20:21], s[6:7], v[198:199]
	v_mul_f64_e32 v[22:23], s[6:7], v[192:193]
	v_fma_f64 v[36:37], v[144:145], s[12:13], v[24:25]
	v_fma_f64 v[38:39], v[144:145], s[28:29], v[26:27]
	;; [unrolled: 1-line block ×3, first 2 shown]
	v_add_f64_e32 v[42:43], v[14:15], v[32:33]
	v_fma_f64 v[24:25], v[144:145], s[42:43], v[24:25]
	v_add_f64_e32 v[144:145], v[14:15], v[30:31]
	v_add_f64_e32 v[8:9], v[16:17], v[8:9]
	v_mul_f64_e32 v[16:17], s[10:11], v[198:199]
	v_add_f64_e32 v[10:11], v[18:19], v[10:11]
	v_mul_f64_e32 v[18:19], s[10:11], v[192:193]
	v_add_f64_e32 v[20:21], v[202:203], v[20:21]
	v_add_f64_e64 v[22:23], v[22:23], -v[200:201]
	v_add_f64_e32 v[36:37], v[14:15], v[36:37]
	v_add_f64_e32 v[72:73], v[14:15], v[26:27]
	v_add_f64_e32 v[192:193], v[14:15], v[44:45]
	v_add_f64_e32 v[44:45], v[12:13], v[54:55]
	v_add_f64_e32 v[26:27], v[14:15], v[34:35]
	v_add_f64_e32 v[34:35], v[12:13], v[56:57]
	v_add_f64_e32 v[56:57], v[12:13], v[70:71]
	v_add_f64_e32 v[24:25], v[14:15], v[24:25]
	v_add_f64_e32 v[38:39], v[14:15], v[38:39]
	v_add_f64_e32 v[198:199], v[14:15], v[46:47]
	v_add_f64_e32 v[16:17], v[206:207], v[16:17]
	v_add_f64_e64 v[18:19], v[18:19], -v[204:205]
	v_add_f64_e32 v[28:29], v[14:15], v[20:21]
	v_add_f64_e32 v[30:31], v[12:13], v[22:23]
	v_mul_f64_e32 v[20:21], s[36:37], v[114:115]
	v_add_f64_e32 v[32:33], v[14:15], v[16:17]
	v_mul_f64_e32 v[16:17], s[44:45], v[108:109]
	;; [unrolled: 2-line block ×3, first 2 shown]
	v_fma_f64 v[22:23], v[82:83], s[28:29], v[20:21]
	v_fma_f64 v[20:21], v[82:83], s[48:49], v[20:21]
	;; [unrolled: 1-line block ×5, first 2 shown]
	v_fma_f64 v[18:19], v[84:85], s[44:45], -v[18:19]
	s_delay_alu instid0(VALU_DEP_4) | instskip(NEXT) | instid1(VALU_DEP_4)
	v_add_f64_e32 v[12:13], v[12:13], v[36:37]
	v_add_f64_e32 v[16:17], v[16:17], v[24:25]
	s_delay_alu instid0(VALU_DEP_4) | instskip(NEXT) | instid1(VALU_DEP_4)
	v_add_f64_e32 v[14:15], v[14:15], v[60:61]
	v_add_f64_e32 v[18:19], v[18:19], v[48:49]
	v_mul_f64_e32 v[48:49], s[40:41], v[86:87]
	v_add_f64_e32 v[12:13], v[22:23], v[12:13]
	v_mul_f64_e32 v[22:23], s[48:49], v[104:105]
	v_add_f64_e32 v[16:17], v[20:21], v[16:17]
	s_delay_alu instid0(VALU_DEP_2) | instskip(SKIP_2) | instid1(VALU_DEP_3)
	v_fma_f64 v[36:37], v[88:89], s[36:37], v[22:23]
	v_fma_f64 v[20:21], v[88:89], s[36:37], -v[22:23]
	v_fma_f64 v[22:23], v[116:117], s[20:21], -v[216:217]
	v_add_f64_e32 v[14:15], v[36:37], v[14:15]
	v_mul_f64_e32 v[36:37], s[6:7], v[120:121]
	s_delay_alu instid0(VALU_DEP_4) | instskip(NEXT) | instid1(VALU_DEP_2)
	v_add_f64_e32 v[18:19], v[20:21], v[18:19]
	v_fma_f64 v[46:47], v[90:91], s[2:3], v[36:37]
	v_fma_f64 v[20:21], v[90:91], s[34:35], v[36:37]
	v_mul_f64_e32 v[36:37], s[22:23], v[120:121]
	s_delay_alu instid0(VALU_DEP_3) | instskip(SKIP_1) | instid1(VALU_DEP_4)
	v_add_f64_e32 v[12:13], v[46:47], v[12:13]
	v_mul_f64_e32 v[46:47], s[34:35], v[112:113]
	v_add_f64_e32 v[16:17], v[20:21], v[16:17]
	s_delay_alu instid0(VALU_DEP_4) | instskip(SKIP_1) | instid1(VALU_DEP_4)
	v_add_f64_e32 v[36:37], v[168:169], v[36:37]
	v_mul_f64_e32 v[168:169], s[22:23], v[92:93]
	v_fma_f64 v[60:61], v[92:93], s[6:7], v[46:47]
	v_fma_f64 v[20:21], v[92:93], s[6:7], -v[46:47]
	v_mul_f64_e32 v[46:47], s[10:11], v[108:109]
	s_delay_alu instid0(VALU_DEP_4) | instskip(SKIP_4) | instid1(VALU_DEP_4)
	v_add_f64_e64 v[162:163], v[168:169], -v[162:163]
	v_mul_f64_e32 v[168:169], s[16:17], v[88:89]
	v_add_f64_e32 v[14:15], v[60:61], v[14:15]
	v_mul_f64_e32 v[60:61], s[16:17], v[124:125]
	v_add_f64_e32 v[18:19], v[20:21], v[18:19]
	v_add_f64_e64 v[156:157], v[168:169], -v[156:157]
	v_mul_f64_e32 v[168:169], s[20:21], v[84:85]
	s_delay_alu instid0(VALU_DEP_4) | instskip(SKIP_2) | instid1(VALU_DEP_4)
	v_fma_f64 v[70:71], v[94:95], s[0:1], v[60:61]
	v_fma_f64 v[20:21], v[94:95], s[18:19], v[60:61]
	v_mul_f64_e32 v[60:61], s[20:21], v[114:115]
	v_add_f64_e64 v[148:149], v[168:169], -v[148:149]
	v_mul_f64_e32 v[168:169], s[30:31], v[128:129]
	v_add_f64_e32 v[12:13], v[70:71], v[12:13]
	v_mul_f64_e32 v[70:71], s[18:19], v[118:119]
	v_add_f64_e32 v[16:17], v[20:21], v[16:17]
	v_fma_f64 v[24:25], v[82:83], s[50:51], v[60:61]
	v_add_f64_e32 v[30:31], v[148:149], v[30:31]
	v_mul_f64_e32 v[148:149], s[30:31], v[100:101]
	v_add_f64_e32 v[168:169], v[186:187], v[168:169]
	v_mul_f64_e32 v[186:187], s[42:43], v[126:127]
	v_fma_f64 v[200:201], v[96:97], s[16:17], v[70:71]
	v_fma_f64 v[20:21], v[96:97], s[16:17], -v[70:71]
	v_mul_f64_e32 v[70:71], s[16:17], v[120:121]
	v_add_f64_e32 v[30:31], v[156:157], v[30:31]
	v_add_f64_e64 v[148:149], v[148:149], -v[180:181]
	v_mul_f64_e32 v[156:157], s[36:37], v[128:129]
	v_mul_f64_e32 v[180:181], s[6:7], v[128:129]
	v_add_f64_e32 v[14:15], v[200:201], v[14:15]
	v_mul_f64_e32 v[200:201], s[10:11], v[128:129]
	v_add_f64_e32 v[18:19], v[20:21], v[18:19]
	v_add_f64_e32 v[30:31], v[162:163], v[30:31]
	v_mul_f64_e32 v[162:163], s[0:1], v[126:127]
	s_delay_alu instid0(VALU_DEP_4) | instskip(SKIP_2) | instid1(VALU_DEP_3)
	v_fma_f64 v[202:203], v[98:99], s[14:15], v[200:201]
	v_fma_f64 v[20:21], v[98:99], s[40:41], v[200:201]
	v_mul_f64_e32 v[200:201], s[0:1], v[112:113]
	v_add_f64_e32 v[12:13], v[202:203], v[12:13]
	v_mul_f64_e32 v[202:203], s[40:41], v[122:123]
	s_delay_alu instid0(VALU_DEP_4) | instskip(NEXT) | instid1(VALU_DEP_2)
	v_add_f64_e32 v[16:17], v[20:21], v[16:17]
	v_fma_f64 v[204:205], v[100:101], s[10:11], v[202:203]
	v_fma_f64 v[20:21], v[100:101], s[10:11], -v[202:203]
	v_mul_f64_e32 v[202:203], s[44:45], v[124:125]
	s_delay_alu instid0(VALU_DEP_3) | instskip(SKIP_1) | instid1(VALU_DEP_4)
	v_add_f64_e32 v[14:15], v[204:205], v[14:15]
	v_mul_f64_e32 v[204:205], s[30:31], v[132:133]
	v_add_f64_e32 v[18:19], v[20:21], v[18:19]
	s_delay_alu instid0(VALU_DEP_2) | instskip(SKIP_2) | instid1(VALU_DEP_3)
	v_fma_f64 v[206:207], v[102:103], s[24:25], v[204:205]
	v_fma_f64 v[20:21], v[102:103], s[52:53], v[204:205]
	v_mul_f64_e32 v[204:205], s[38:39], v[118:119]
	v_add_f64_e32 v[12:13], v[206:207], v[12:13]
	v_mul_f64_e32 v[206:207], s[52:53], v[126:127]
	s_delay_alu instid0(VALU_DEP_4) | instskip(NEXT) | instid1(VALU_DEP_2)
	v_add_f64_e32 v[16:17], v[20:21], v[16:17]
	v_fma_f64 v[20:21], v[106:107], s[30:31], -v[206:207]
	v_fma_f64 v[212:213], v[106:107], s[30:31], v[206:207]
	v_mul_f64_e32 v[206:207], s[22:23], v[128:129]
	s_delay_alu instid0(VALU_DEP_3) | instskip(SKIP_1) | instid1(VALU_DEP_4)
	v_add_f64_e32 v[20:21], v[20:21], v[18:19]
	v_fma_f64 v[18:19], v[110:111], s[50:51], v[214:215]
	v_add_f64_e32 v[212:213], v[212:213], v[14:15]
	v_fma_f64 v[14:15], v[110:111], s[26:27], v[214:215]
	v_mul_f64_e32 v[214:215], s[6:7], v[132:133]
	s_delay_alu instid0(VALU_DEP_4)
	v_add_f64_e32 v[18:19], v[18:19], v[16:17]
	v_add_f64_e32 v[16:17], v[22:23], v[20:21]
	v_fma_f64 v[20:21], v[80:81], s[14:15], v[46:47]
	v_fma_f64 v[22:23], v[84:85], s[10:11], v[48:49]
	v_add_f64_e32 v[14:15], v[14:15], v[12:13]
	v_fma_f64 v[12:13], v[116:117], s[20:21], v[216:217]
	v_mul_f64_e32 v[216:217], s[34:35], v[126:127]
	v_add_f64_e32 v[20:21], v[20:21], v[38:39]
	v_add_f64_e32 v[22:23], v[22:23], v[62:63]
	v_mul_f64_e32 v[62:63], s[26:27], v[104:105]
	v_add_f64_e32 v[12:13], v[12:13], v[212:213]
	v_mul_f64_e32 v[212:213], s[42:43], v[122:123]
	v_mul_f64_e32 v[38:39], s[16:17], v[114:115]
	v_add_f64_e32 v[20:21], v[24:25], v[20:21]
	v_fma_f64 v[24:25], v[88:89], s[20:21], v[62:63]
	s_delay_alu instid0(VALU_DEP_3) | instskip(SKIP_1) | instid1(VALU_DEP_3)
	v_add_f64_e32 v[38:39], v[158:159], v[38:39]
	v_mul_f64_e32 v[158:159], s[20:21], v[108:109]
	v_add_f64_e32 v[22:23], v[24:25], v[22:23]
	v_fma_f64 v[24:25], v[90:91], s[18:19], v[70:71]
	s_delay_alu instid0(VALU_DEP_3) | instskip(SKIP_1) | instid1(VALU_DEP_3)
	v_add_f64_e32 v[150:151], v[150:151], v[158:159]
	v_mul_f64_e32 v[158:159], s[36:37], v[96:97]
	v_add_f64_e32 v[20:21], v[24:25], v[20:21]
	v_fma_f64 v[24:25], v[92:93], s[16:17], v[200:201]
	s_delay_alu instid0(VALU_DEP_4) | instskip(NEXT) | instid1(VALU_DEP_4)
	v_add_f64_e32 v[28:29], v[150:151], v[28:29]
	v_add_f64_e64 v[158:159], v[158:159], -v[176:177]
	v_mul_f64_e32 v[150:151], s[30:31], v[92:93]
	v_mul_f64_e32 v[176:177], s[20:21], v[124:125]
	v_add_f64_e32 v[22:23], v[24:25], v[22:23]
	v_fma_f64 v[24:25], v[94:95], s[46:47], v[202:203]
	v_add_f64_e32 v[28:29], v[38:39], v[28:29]
	v_mul_f64_e32 v[38:39], s[10:11], v[132:133]
	v_add_f64_e32 v[30:31], v[158:159], v[30:31]
	v_add_f64_e64 v[150:151], v[150:151], -v[152:153]
	v_mul_f64_e32 v[152:153], s[16:17], v[84:85]
	v_mul_f64_e32 v[158:159], s[48:49], v[122:123]
	v_add_f64_e32 v[20:21], v[24:25], v[20:21]
	v_fma_f64 v[24:25], v[96:97], s[44:45], v[204:205]
	v_add_f64_e32 v[28:29], v[36:37], v[28:29]
	v_mul_f64_e32 v[36:37], s[10:11], v[106:107]
	v_add_f64_e32 v[38:39], v[190:191], v[38:39]
	v_add_f64_e32 v[30:31], v[148:149], v[30:31]
	v_mul_f64_e32 v[148:149], s[44:45], v[116:117]
	v_add_f64_e64 v[136:137], v[152:153], -v[136:137]
	v_mul_f64_e32 v[152:153], s[22:23], v[88:89]
	v_mul_f64_e32 v[190:191], s[40:41], v[130:131]
	v_add_f64_e32 v[22:23], v[24:25], v[22:23]
	v_fma_f64 v[24:25], v[98:99], s[12:13], v[206:207]
	v_add_f64_e64 v[36:37], v[36:37], -v[188:189]
	v_mul_f64_e32 v[188:189], s[10:11], v[134:135]
	v_add_f64_e64 v[148:149], v[148:149], -v[194:195]
	v_add_f64_e32 v[54:55], v[136:137], v[54:55]
	v_add_f64_e64 v[140:141], v[152:153], -v[140:141]
	v_mul_f64_e32 v[136:137], s[44:45], v[100:101]
	v_mul_f64_e32 v[152:153], s[10:11], v[124:125]
	v_add_f64_e32 v[20:21], v[24:25], v[20:21]
	v_fma_f64 v[24:25], v[100:101], s[22:23], v[212:213]
	v_add_f64_e32 v[36:37], v[36:37], v[30:31]
	v_add_f64_e32 v[54:55], v[140:141], v[54:55]
	v_add_f64_e64 v[136:137], v[136:137], -v[166:167]
	v_mul_f64_e32 v[140:141], s[30:31], v[114:115]
	v_mul_f64_e32 v[166:167], s[34:35], v[130:131]
	v_add_f64_e32 v[22:23], v[24:25], v[22:23]
	v_fma_f64 v[24:25], v[102:103], s[2:3], v[214:215]
	s_delay_alu instid0(VALU_DEP_1) | instskip(SKIP_1) | instid1(VALU_DEP_1)
	v_add_f64_e32 v[20:21], v[24:25], v[20:21]
	v_fma_f64 v[24:25], v[106:107], s[6:7], v[216:217]
	v_add_f64_e32 v[24:25], v[24:25], v[22:23]
	v_fma_f64 v[22:23], v[110:111], s[24:25], v[218:219]
	s_delay_alu instid0(VALU_DEP_1) | instskip(SKIP_1) | instid1(VALU_DEP_1)
	v_add_f64_e32 v[22:23], v[22:23], v[20:21]
	v_fma_f64 v[20:21], v[116:117], s[30:31], v[220:221]
	v_add_f64_e32 v[20:21], v[20:21], v[24:25]
	v_fma_f64 v[24:25], v[80:81], s[2:3], v[222:223]
	s_delay_alu instid0(VALU_DEP_1) | instskip(SKIP_1) | instid1(VALU_DEP_1)
	v_add_f64_e32 v[24:25], v[24:25], v[26:27]
	v_fma_f64 v[26:27], v[84:85], s[6:7], -v[224:225]
	v_add_f64_e32 v[26:27], v[26:27], v[34:35]
	v_fma_f64 v[34:35], v[82:83], s[14:15], v[226:227]
	s_delay_alu instid0(VALU_DEP_1) | instskip(SKIP_1) | instid1(VALU_DEP_1)
	v_add_f64_e32 v[24:25], v[34:35], v[24:25]
	v_fma_f64 v[34:35], v[88:89], s[10:11], -v[228:229]
	;; [unrolled: 5-line block ×7, first 2 shown]
	v_add_f64_e32 v[24:25], v[24:25], v[34:35]
	v_mul_f64_e32 v[34:35], s[36:37], v[124:125]
	s_delay_alu instid0(VALU_DEP_1) | instskip(SKIP_1) | instid1(VALU_DEP_2)
	v_add_f64_e32 v[34:35], v[182:183], v[34:35]
	v_mul_f64_e32 v[182:183], s[2:3], v[122:123]
	v_add_f64_e32 v[28:29], v[34:35], v[28:29]
	v_mul_f64_e32 v[34:35], s[44:45], v[134:135]
	s_delay_alu instid0(VALU_DEP_2) | instskip(NEXT) | instid1(VALU_DEP_2)
	v_add_f64_e32 v[28:29], v[168:169], v[28:29]
	v_add_f64_e32 v[34:35], v[196:197], v[34:35]
	v_mul_f64_e32 v[168:169], s[24:25], v[86:87]
	s_delay_alu instid0(VALU_DEP_3) | instskip(SKIP_1) | instid1(VALU_DEP_2)
	v_add_f64_e32 v[28:29], v[38:39], v[28:29]
	v_mul_f64_e32 v[38:39], s[30:31], v[120:121]
	v_add_f64_e32 v[30:31], v[34:35], v[28:29]
	v_add_f64_e32 v[28:29], v[148:149], v[36:37]
	v_mul_f64_e32 v[148:149], s[22:23], v[114:115]
	v_mul_f64_e32 v[36:37], s[6:7], v[124:125]
	v_add_f64_e32 v[38:39], v[154:155], v[38:39]
	v_mul_f64_e32 v[34:35], s[44:45], v[128:129]
	v_mul_f64_e32 v[154:155], s[14:15], v[118:119]
	v_add_f64_e32 v[146:147], v[146:147], v[148:149]
	v_mul_f64_e32 v[148:149], s[16:17], v[108:109]
	v_add_f64_e32 v[36:37], v[164:165], v[36:37]
	v_add_f64_e32 v[34:35], v[172:173], v[34:35]
	v_mul_f64_e32 v[164:165], s[6:7], v[134:135]
	v_mul_f64_e32 v[172:173], s[36:37], v[120:121]
	v_add_f64_e32 v[138:139], v[138:139], v[148:149]
	v_mul_f64_e32 v[148:149], s[6:7], v[96:97]
	s_delay_alu instid0(VALU_DEP_2) | instskip(NEXT) | instid1(VALU_DEP_2)
	v_add_f64_e32 v[32:33], v[138:139], v[32:33]
	v_add_f64_e64 v[148:149], v[148:149], -v[160:161]
	v_mul_f64_e32 v[138:139], s[20:21], v[132:133]
	v_mul_f64_e32 v[160:161], s[16:17], v[132:133]
	s_delay_alu instid0(VALU_DEP_4) | instskip(SKIP_1) | instid1(VALU_DEP_4)
	v_add_f64_e32 v[32:33], v[146:147], v[32:33]
	v_mul_f64_e32 v[146:147], s[24:25], v[104:105]
	v_add_f64_e32 v[138:139], v[174:175], v[138:139]
	v_mul_f64_e32 v[174:175], s[48:49], v[112:113]
	s_delay_alu instid0(VALU_DEP_4) | instskip(SKIP_3) | instid1(VALU_DEP_4)
	v_add_f64_e32 v[32:33], v[38:39], v[32:33]
	v_add_f64_e32 v[38:39], v[150:151], v[54:55]
	v_mul_f64_e32 v[54:55], s[20:21], v[106:107]
	v_mul_f64_e32 v[150:151], s[46:47], v[112:113]
	v_add_f64_e32 v[32:33], v[36:37], v[32:33]
	s_delay_alu instid0(VALU_DEP_4) | instskip(NEXT) | instid1(VALU_DEP_4)
	v_add_f64_e32 v[36:37], v[148:149], v[38:39]
	v_add_f64_e64 v[54:55], v[54:55], -v[170:171]
	v_mul_f64_e32 v[38:39], s[36:37], v[134:135]
	v_mul_f64_e32 v[148:149], s[44:45], v[120:121]
	;; [unrolled: 1-line block ×3, first 2 shown]
	v_add_f64_e32 v[32:33], v[34:35], v[32:33]
	v_add_f64_e32 v[34:35], v[136:137], v[36:37]
	v_mul_f64_e32 v[36:37], s[36:37], v[116:117]
	v_add_f64_e32 v[38:39], v[184:185], v[38:39]
	v_mul_f64_e32 v[136:137], s[22:23], v[108:109]
	v_mul_f64_e32 v[184:185], s[22:23], v[132:133]
	v_add_f64_e32 v[32:33], v[138:139], v[32:33]
	v_add_f64_e32 v[54:55], v[54:55], v[34:35]
	v_add_f64_e64 v[36:37], v[36:37], -v[178:179]
	v_mul_f64_e32 v[138:139], s[42:43], v[86:87]
	v_mul_f64_e32 v[178:179], s[50:51], v[118:119]
	v_add_f64_e32 v[34:35], v[38:39], v[32:33]
	s_delay_alu instid0(VALU_DEP_4) | instskip(SKIP_3) | instid1(VALU_DEP_3)
	v_add_f64_e32 v[32:33], v[36:37], v[54:55]
	v_fma_f64 v[36:37], v[80:81], s[42:43], v[136:137]
	v_fma_f64 v[38:39], v[84:85], s[22:23], -v[138:139]
	v_mul_f64_e32 v[54:55], s[30:31], v[108:109]
	v_add_f64_e32 v[36:37], v[36:37], v[42:43]
	v_fma_f64 v[42:43], v[82:83], s[24:25], v[140:141]
	s_delay_alu instid0(VALU_DEP_4) | instskip(NEXT) | instid1(VALU_DEP_2)
	v_add_f64_e32 v[38:39], v[38:39], v[44:45]
	v_add_f64_e32 v[36:37], v[42:43], v[36:37]
	v_fma_f64 v[42:43], v[88:89], s[30:31], -v[146:147]
	s_delay_alu instid0(VALU_DEP_1) | instskip(SKIP_1) | instid1(VALU_DEP_1)
	v_add_f64_e32 v[38:39], v[42:43], v[38:39]
	v_fma_f64 v[42:43], v[90:91], s[46:47], v[148:149]
	v_add_f64_e32 v[36:37], v[42:43], v[36:37]
	v_fma_f64 v[42:43], v[92:93], s[44:45], -v[150:151]
	s_delay_alu instid0(VALU_DEP_1) | instskip(SKIP_1) | instid1(VALU_DEP_1)
	v_add_f64_e32 v[38:39], v[42:43], v[38:39]
	v_fma_f64 v[42:43], v[94:95], s[14:15], v[152:153]
	;; [unrolled: 5-line block ×6, first 2 shown]
	v_add_f64_e32 v[40:41], v[42:43], v[40:41]
	v_fma_f64 v[42:43], v[84:85], s[30:31], -v[168:169]
	s_delay_alu instid0(VALU_DEP_1) | instskip(SKIP_1) | instid1(VALU_DEP_1)
	v_add_f64_e32 v[42:43], v[42:43], v[52:53]
	v_mul_f64_e32 v[52:53], s[44:45], v[114:115]
	v_fma_f64 v[44:45], v[82:83], s[38:39], v[52:53]
	v_fma_f64 v[52:53], v[82:83], s[46:47], v[52:53]
	s_delay_alu instid0(VALU_DEP_2) | instskip(SKIP_1) | instid1(VALU_DEP_1)
	v_add_f64_e32 v[40:41], v[44:45], v[40:41]
	v_fma_f64 v[44:45], v[88:89], s[44:45], -v[170:171]
	v_add_f64_e32 v[42:43], v[44:45], v[42:43]
	v_fma_f64 v[44:45], v[90:91], s[48:49], v[172:173]
	s_delay_alu instid0(VALU_DEP_1) | instskip(SKIP_1) | instid1(VALU_DEP_1)
	v_add_f64_e32 v[40:41], v[44:45], v[40:41]
	v_fma_f64 v[44:45], v[92:93], s[36:37], -v[174:175]
	v_add_f64_e32 v[42:43], v[44:45], v[42:43]
	v_fma_f64 v[44:45], v[94:95], s[50:51], v[176:177]
	s_delay_alu instid0(VALU_DEP_1) | instskip(SKIP_1) | instid1(VALU_DEP_1)
	;; [unrolled: 5-line block ×5, first 2 shown]
	v_add_f64_e32 v[42:43], v[42:43], v[40:41]
	v_fma_f64 v[40:41], v[116:117], s[10:11], -v[190:191]
	v_add_f64_e32 v[40:41], v[40:41], v[44:45]
	v_fma_f64 v[44:45], v[80:81], s[40:41], v[46:47]
	v_fma_f64 v[46:47], v[84:85], s[10:11], -v[48:49]
	v_fma_f64 v[48:49], v[82:83], s[26:27], v[60:61]
	v_mul_f64_e32 v[60:61], s[36:37], v[108:109]
	s_delay_alu instid0(VALU_DEP_4) | instskip(NEXT) | instid1(VALU_DEP_4)
	v_add_f64_e32 v[44:45], v[44:45], v[72:73]
	v_add_f64_e32 v[46:47], v[46:47], v[50:51]
	v_fma_f64 v[50:51], v[116:117], s[30:31], -v[220:221]
	s_delay_alu instid0(VALU_DEP_3) | instskip(SKIP_2) | instid1(VALU_DEP_2)
	v_add_f64_e32 v[44:45], v[48:49], v[44:45]
	v_fma_f64 v[48:49], v[88:89], s[20:21], -v[62:63]
	v_mul_f64_e32 v[62:63], s[28:29], v[86:87]
	v_add_f64_e32 v[46:47], v[48:49], v[46:47]
	v_fma_f64 v[48:49], v[90:91], s[0:1], v[70:71]
	s_delay_alu instid0(VALU_DEP_1) | instskip(SKIP_1) | instid1(VALU_DEP_1)
	v_add_f64_e32 v[44:45], v[48:49], v[44:45]
	v_fma_f64 v[48:49], v[92:93], s[16:17], -v[200:201]
	v_add_f64_e32 v[46:47], v[48:49], v[46:47]
	v_fma_f64 v[48:49], v[94:95], s[38:39], v[202:203]
	s_delay_alu instid0(VALU_DEP_1) | instskip(SKIP_1) | instid1(VALU_DEP_1)
	v_add_f64_e32 v[44:45], v[48:49], v[44:45]
	v_fma_f64 v[48:49], v[96:97], s[44:45], -v[204:205]
	;; [unrolled: 5-line block ×4, first 2 shown]
	v_add_f64_e32 v[48:49], v[48:49], v[46:47]
	v_fma_f64 v[46:47], v[110:111], s[52:53], v[218:219]
	s_delay_alu instid0(VALU_DEP_1) | instskip(NEXT) | instid1(VALU_DEP_3)
	v_add_f64_e32 v[46:47], v[46:47], v[44:45]
	v_add_f64_e32 v[44:45], v[50:51], v[48:49]
	v_fma_f64 v[48:49], v[80:81], s[52:53], v[54:55]
	v_fma_f64 v[50:51], v[84:85], s[30:31], v[168:169]
	;; [unrolled: 1-line block ×3, first 2 shown]
	s_delay_alu instid0(VALU_DEP_3) | instskip(NEXT) | instid1(VALU_DEP_3)
	v_add_f64_e32 v[48:49], v[48:49], v[74:75]
	v_add_f64_e32 v[50:51], v[50:51], v[64:65]
	s_delay_alu instid0(VALU_DEP_2) | instskip(SKIP_1) | instid1(VALU_DEP_1)
	v_add_f64_e32 v[48:49], v[52:53], v[48:49]
	v_fma_f64 v[52:53], v[88:89], s[44:45], v[170:171]
	v_add_f64_e32 v[50:51], v[52:53], v[50:51]
	v_fma_f64 v[52:53], v[90:91], s[28:29], v[172:173]
	s_delay_alu instid0(VALU_DEP_1) | instskip(SKIP_1) | instid1(VALU_DEP_1)
	v_add_f64_e32 v[48:49], v[52:53], v[48:49]
	v_fma_f64 v[52:53], v[92:93], s[36:37], v[174:175]
	v_add_f64_e32 v[50:51], v[52:53], v[50:51]
	v_fma_f64 v[52:53], v[94:95], s[26:27], v[176:177]
	s_delay_alu instid0(VALU_DEP_1) | instskip(SKIP_1) | instid1(VALU_DEP_1)
	v_add_f64_e32 v[48:49], v[52:53], v[48:49]
	v_fma_f64 v[52:53], v[96:97], s[20:21], v[178:179]
	v_add_f64_e32 v[50:51], v[52:53], v[50:51]
	v_fma_f64 v[52:53], v[98:99], s[34:35], v[180:181]
	s_delay_alu instid0(VALU_DEP_1) | instskip(SKIP_1) | instid1(VALU_DEP_1)
	v_add_f64_e32 v[48:49], v[52:53], v[48:49]
	v_fma_f64 v[52:53], v[100:101], s[6:7], v[182:183]
	v_add_f64_e32 v[50:51], v[52:53], v[50:51]
	v_fma_f64 v[52:53], v[102:103], s[12:13], v[184:185]
	s_delay_alu instid0(VALU_DEP_1) | instskip(SKIP_1) | instid1(VALU_DEP_1)
	v_add_f64_e32 v[48:49], v[52:53], v[48:49]
	v_fma_f64 v[52:53], v[106:107], s[22:23], v[186:187]
	v_add_f64_e32 v[52:53], v[52:53], v[50:51]
	v_fma_f64 v[50:51], v[110:111], s[14:15], v[188:189]
	s_delay_alu instid0(VALU_DEP_1) | instskip(NEXT) | instid1(VALU_DEP_3)
	v_add_f64_e32 v[50:51], v[50:51], v[48:49]
	v_add_f64_e32 v[48:49], v[54:55], v[52:53]
	v_fma_f64 v[54:55], v[84:85], s[36:37], -v[62:63]
	v_fma_f64 v[52:53], v[80:81], s[28:29], v[60:61]
	v_fma_f64 v[60:61], v[80:81], s[48:49], v[60:61]
	;; [unrolled: 1-line block ×3, first 2 shown]
	s_delay_alu instid0(VALU_DEP_4) | instskip(SKIP_4) | instid1(VALU_DEP_4)
	v_add_f64_e32 v[54:55], v[54:55], v[58:59]
	v_mul_f64_e32 v[58:59], s[6:7], v[114:115]
	v_add_f64_e32 v[52:53], v[52:53], v[144:145]
	v_add_f64_e32 v[60:61], v[60:61], v[142:143]
	;; [unrolled: 1-line block ×3, first 2 shown]
	v_fma_f64 v[64:65], v[82:83], s[34:35], v[58:59]
	v_fma_f64 v[58:59], v[82:83], s[2:3], v[58:59]
	s_delay_alu instid0(VALU_DEP_2) | instskip(SKIP_1) | instid1(VALU_DEP_3)
	v_add_f64_e32 v[52:53], v[64:65], v[52:53]
	v_mul_f64_e32 v[64:65], s[34:35], v[104:105]
	v_add_f64_e32 v[58:59], v[58:59], v[60:61]
	s_delay_alu instid0(VALU_DEP_2) | instskip(SKIP_2) | instid1(VALU_DEP_3)
	v_fma_f64 v[70:71], v[88:89], s[6:7], -v[64:65]
	v_fma_f64 v[60:61], v[88:89], s[6:7], v[64:65]
	v_fma_f64 v[64:65], v[82:83], s[52:53], v[140:141]
	v_add_f64_e32 v[54:55], v[70:71], v[54:55]
	v_mul_f64_e32 v[70:71], s[10:11], v[120:121]
	s_delay_alu instid0(VALU_DEP_4) | instskip(SKIP_1) | instid1(VALU_DEP_3)
	v_add_f64_e32 v[56:57], v[60:61], v[56:57]
	v_mul_f64_e32 v[120:121], s[16:17], v[134:135]
	v_fma_f64 v[72:73], v[90:91], s[14:15], v[70:71]
	v_fma_f64 v[60:61], v[90:91], s[40:41], v[70:71]
	;; [unrolled: 1-line block ×3, first 2 shown]
	s_delay_alu instid0(VALU_DEP_3) | instskip(SKIP_1) | instid1(VALU_DEP_4)
	v_add_f64_e32 v[52:53], v[72:73], v[52:53]
	v_mul_f64_e32 v[72:73], s[14:15], v[112:113]
	v_add_f64_e32 v[58:59], v[60:61], v[58:59]
	s_delay_alu instid0(VALU_DEP_2) | instskip(SKIP_2) | instid1(VALU_DEP_3)
	v_fma_f64 v[74:75], v[92:93], s[10:11], -v[72:73]
	v_fma_f64 v[60:61], v[92:93], s[10:11], v[72:73]
	v_fma_f64 v[72:73], v[88:89], s[10:11], v[228:229]
	v_add_f64_e32 v[54:55], v[74:75], v[54:55]
	v_mul_f64_e32 v[74:75], s[22:23], v[124:125]
	s_delay_alu instid0(VALU_DEP_4) | instskip(NEXT) | instid1(VALU_DEP_2)
	v_add_f64_e32 v[56:57], v[60:61], v[56:57]
	v_fma_f64 v[86:87], v[94:95], s[42:43], v[74:75]
	v_fma_f64 v[60:61], v[94:95], s[12:13], v[74:75]
	s_delay_alu instid0(VALU_DEP_2) | instskip(SKIP_1) | instid1(VALU_DEP_3)
	v_add_f64_e32 v[52:53], v[86:87], v[52:53]
	v_mul_f64_e32 v[86:87], s[42:43], v[118:119]
	v_add_f64_e32 v[58:59], v[60:61], v[58:59]
	s_delay_alu instid0(VALU_DEP_2) | instskip(SKIP_1) | instid1(VALU_DEP_2)
	v_fma_f64 v[104:105], v[96:97], s[22:23], -v[86:87]
	v_fma_f64 v[60:61], v[96:97], s[22:23], v[86:87]
	v_add_f64_e32 v[54:55], v[104:105], v[54:55]
	v_mul_f64_e32 v[104:105], s[20:21], v[128:129]
	s_delay_alu instid0(VALU_DEP_3) | instskip(NEXT) | instid1(VALU_DEP_2)
	v_add_f64_e32 v[56:57], v[60:61], v[56:57]
	v_fma_f64 v[108:109], v[98:99], s[50:51], v[104:105]
	v_fma_f64 v[60:61], v[98:99], s[26:27], v[104:105]
	s_delay_alu instid0(VALU_DEP_2) | instskip(SKIP_1) | instid1(VALU_DEP_3)
	v_add_f64_e32 v[52:53], v[108:109], v[52:53]
	v_mul_f64_e32 v[108:109], s[50:51], v[122:123]
	v_add_f64_e32 v[58:59], v[60:61], v[58:59]
	v_mul_f64_e32 v[122:123], s[18:19], v[130:131]
	s_delay_alu instid0(VALU_DEP_3) | instskip(SKIP_1) | instid1(VALU_DEP_3)
	v_fma_f64 v[112:113], v[100:101], s[20:21], -v[108:109]
	v_fma_f64 v[60:61], v[100:101], s[20:21], v[108:109]
	v_fma_f64 v[62:63], v[116:117], s[16:17], v[122:123]
	s_delay_alu instid0(VALU_DEP_3) | instskip(SKIP_1) | instid1(VALU_DEP_4)
	v_add_f64_e32 v[54:55], v[112:113], v[54:55]
	v_mul_f64_e32 v[112:113], s[44:45], v[132:133]
	v_add_f64_e32 v[56:57], v[60:61], v[56:57]
	s_delay_alu instid0(VALU_DEP_2) | instskip(SKIP_1) | instid1(VALU_DEP_2)
	v_fma_f64 v[114:115], v[102:103], s[38:39], v[112:113]
	v_fma_f64 v[60:61], v[102:103], s[46:47], v[112:113]
	v_add_f64_e32 v[52:53], v[114:115], v[52:53]
	v_mul_f64_e32 v[114:115], s[38:39], v[126:127]
	s_delay_alu instid0(VALU_DEP_3) | instskip(NEXT) | instid1(VALU_DEP_2)
	v_add_f64_e32 v[58:59], v[60:61], v[58:59]
	v_fma_f64 v[60:61], v[106:107], s[44:45], v[114:115]
	v_fma_f64 v[118:119], v[106:107], s[44:45], -v[114:115]
	s_delay_alu instid0(VALU_DEP_2) | instskip(SKIP_1) | instid1(VALU_DEP_3)
	v_add_f64_e32 v[56:57], v[60:61], v[56:57]
	v_fma_f64 v[60:61], v[110:111], s[0:1], v[120:121]
	v_add_f64_e32 v[118:119], v[118:119], v[54:55]
	v_fma_f64 v[54:55], v[110:111], s[18:19], v[120:121]
	s_delay_alu instid0(VALU_DEP_4) | instskip(NEXT) | instid1(VALU_DEP_4)
	v_add_f64_e32 v[56:57], v[62:63], v[56:57]
	v_add_f64_e32 v[58:59], v[60:61], v[58:59]
	v_fma_f64 v[60:61], v[80:81], s[12:13], v[136:137]
	v_fma_f64 v[62:63], v[84:85], s[22:23], v[138:139]
	v_add_f64_e32 v[54:55], v[54:55], v[52:53]
	v_fma_f64 v[52:53], v[116:117], s[16:17], -v[122:123]
	s_delay_alu instid0(VALU_DEP_4) | instskip(NEXT) | instid1(VALU_DEP_4)
	v_add_f64_e32 v[60:61], v[60:61], v[192:193]
	v_add_f64_e32 v[62:63], v[62:63], v[66:67]
	v_fma_f64 v[66:67], v[116:117], s[6:7], v[166:167]
	s_delay_alu instid0(VALU_DEP_4) | instskip(NEXT) | instid1(VALU_DEP_4)
	v_add_f64_e32 v[52:53], v[52:53], v[118:119]
	v_add_f64_e32 v[60:61], v[64:65], v[60:61]
	v_fma_f64 v[64:65], v[88:89], s[30:31], v[146:147]
	s_delay_alu instid0(VALU_DEP_1) | instskip(SKIP_1) | instid1(VALU_DEP_1)
	v_add_f64_e32 v[62:63], v[64:65], v[62:63]
	v_fma_f64 v[64:65], v[90:91], s[38:39], v[148:149]
	v_add_f64_e32 v[60:61], v[64:65], v[60:61]
	v_fma_f64 v[64:65], v[92:93], s[44:45], v[150:151]
	s_delay_alu instid0(VALU_DEP_1) | instskip(SKIP_1) | instid1(VALU_DEP_1)
	v_add_f64_e32 v[62:63], v[64:65], v[62:63]
	v_fma_f64 v[64:65], v[94:95], s[40:41], v[152:153]
	v_add_f64_e32 v[60:61], v[64:65], v[60:61]
	v_fma_f64 v[64:65], v[96:97], s[10:11], v[154:155]
	s_delay_alu instid0(VALU_DEP_1) | instskip(SKIP_1) | instid1(VALU_DEP_1)
	v_add_f64_e32 v[62:63], v[64:65], v[62:63]
	v_fma_f64 v[64:65], v[98:99], s[28:29], v[156:157]
	v_add_f64_e32 v[60:61], v[64:65], v[60:61]
	v_fma_f64 v[64:65], v[100:101], s[36:37], v[158:159]
	s_delay_alu instid0(VALU_DEP_1) | instskip(SKIP_1) | instid1(VALU_DEP_1)
	v_add_f64_e32 v[62:63], v[64:65], v[62:63]
	v_fma_f64 v[64:65], v[102:103], s[18:19], v[160:161]
	v_add_f64_e32 v[60:61], v[64:65], v[60:61]
	v_fma_f64 v[64:65], v[106:107], s[16:17], v[162:163]
	s_delay_alu instid0(VALU_DEP_1) | instskip(SKIP_1) | instid1(VALU_DEP_1)
	v_add_f64_e32 v[64:65], v[64:65], v[62:63]
	v_fma_f64 v[62:63], v[110:111], s[2:3], v[164:165]
	v_add_f64_e32 v[62:63], v[62:63], v[60:61]
	s_delay_alu instid0(VALU_DEP_3) | instskip(SKIP_2) | instid1(VALU_DEP_2)
	v_add_f64_e32 v[60:61], v[66:67], v[64:65]
	v_fma_f64 v[64:65], v[80:81], s[34:35], v[222:223]
	v_fma_f64 v[66:67], v[84:85], s[6:7], v[224:225]
	v_add_f64_e32 v[64:65], v[64:65], v[198:199]
	s_delay_alu instid0(VALU_DEP_2) | instskip(SKIP_1) | instid1(VALU_DEP_3)
	v_add_f64_e32 v[66:67], v[66:67], v[68:69]
	v_fma_f64 v[68:69], v[90:91], s[50:51], v[230:231]
	v_add_f64_e32 v[64:65], v[70:71], v[64:65]
	v_fma_f64 v[70:71], v[92:93], s[20:21], v[232:233]
	s_delay_alu instid0(VALU_DEP_4) | instskip(SKIP_1) | instid1(VALU_DEP_4)
	v_add_f64_e32 v[66:67], v[72:73], v[66:67]
	v_fma_f64 v[72:73], v[94:95], s[24:25], v[234:235]
	v_add_f64_e32 v[64:65], v[68:69], v[64:65]
	v_fma_f64 v[68:69], v[96:97], s[30:31], v[236:237]
	s_delay_alu instid0(VALU_DEP_4) | instskip(SKIP_1) | instid1(VALU_DEP_4)
	;; [unrolled: 5-line block ×4, first 2 shown]
	v_add_f64_e32 v[66:67], v[72:73], v[66:67]
	v_fma_f64 v[72:73], v[110:111], s[12:13], v[246:247]
	v_add_f64_e32 v[64:65], v[68:69], v[64:65]
	v_fma_f64 v[68:69], v[116:117], s[22:23], v[248:249]
	s_delay_alu instid0(VALU_DEP_4) | instskip(NEXT) | instid1(VALU_DEP_3)
	v_add_f64_e32 v[70:71], v[70:71], v[66:67]
	v_add_f64_e32 v[66:67], v[72:73], v[64:65]
	s_delay_alu instid0(VALU_DEP_2) | instskip(SKIP_1) | instid1(VALU_DEP_1)
	v_add_f64_e32 v[64:65], v[68:69], v[70:71]
	v_mul_u32_u24_e32 v68, 0x110, v76
	v_add3_u32 v68, 0, v68, v211
	ds_store_b128 v68, v[8:11]
	ds_store_b128 v68, v[24:27] offset:16
	ds_store_b128 v68, v[28:31] offset:32
	;; [unrolled: 1-line block ×16, first 2 shown]
.LBB0_12:
	s_or_b32 exec_lo, exec_lo, s33
	global_wb scope:SCOPE_SE
	s_wait_dscnt 0x0
	s_barrier_signal -1
	s_barrier_wait -1
	global_inv scope:SCOPE_SE
	ds_load_b128 v[8:11], v208
	ds_load_b128 v[12:15], v77 offset:544
	ds_load_b128 v[36:39], v77 offset:4624
	;; [unrolled: 1-line block ×13, first 2 shown]
	v_cmp_gt_u32_e64 s0, 17, v76
	s_delay_alu instid0(VALU_DEP_1)
	s_and_saveexec_b32 s1, s0
	s_cbranch_execz .LBB0_14
; %bb.13:
	ds_load_b128 v[0:3], v77 offset:3808
	ds_load_b128 v[4:7], v77 offset:7888
.LBB0_14:
	s_wait_alu 0xfffe
	s_or_b32 exec_lo, exec_lo, s1
	v_add_nc_u32_e32 v67, 34, v76
	v_dual_mov_b32 v65, 0 :: v_dual_add_nc_u32 v66, 0x44, v76
	v_add_nc_u16 v68, v76, 0x66
	v_subrev_nc_u32_e32 v64, 17, v76
	s_delay_alu instid0(VALU_DEP_4) | instskip(NEXT) | instid1(VALU_DEP_4)
	v_and_b32_e32 v70, 0xff, v67
	v_and_b32_e32 v71, 0xff, v66
	v_add_nc_u16 v69, v76, 0x88
	v_and_b32_e32 v80, 0xff, v68
	v_add_nc_u16 v75, v76, 0xaa
	v_mul_lo_u16 v70, 0xf1, v70
	v_mul_lo_u16 v72, 0xf1, v71
	v_cndmask_b32_e64 v64, v64, v76, s0
	v_mul_lo_u16 v71, 0xf1, v80
	v_add_nc_u16 v88, v76, 0xcc
	v_lshrrev_b16 v120, 12, v70
	v_and_b32_e32 v81, 0xff, v69
	v_and_b32_e32 v82, 0xff, v75
	v_lshlrev_b64_e32 v[73:74], 4, v[64:65]
	v_and_b32_e32 v83, 0xff, v88
	v_mul_lo_u16 v80, v120, 17
	v_mul_lo_u16 v70, 0xf1, v81
	v_lshrrev_b16 v121, 12, v72
	v_mul_lo_u16 v81, 0xf1, v82
	v_lshrrev_b16 v122, 12, v71
	v_sub_nc_u16 v80, v67, v80
	v_mul_lo_u16 v82, 0xf1, v83
	v_add_co_u32 v73, s1, s4, v73
	v_lshrrev_b16 v123, 12, v70
	s_delay_alu instid0(VALU_DEP_4)
	v_and_b32_e32 v80, 0xff, v80
	s_wait_alu 0xf1ff
	v_add_co_ci_u32_e64 v74, s1, s5, v74, s1
	v_mul_lo_u16 v89, v121, 17
	v_lshrrev_b16 v124, 12, v81
	v_lshlrev_b32_e32 v126, 4, v80
	v_mul_lo_u16 v90, v122, 17
	v_lshrrev_b16 v125, 12, v82
	v_mul_lo_u16 v91, v123, 17
	s_clause 0x1
	global_load_b128 v[80:83], v[73:74], off
	global_load_b128 v[84:87], v126, s[4:5]
	v_sub_nc_u16 v73, v66, v89
	v_mul_lo_u16 v74, v124, 17
	v_sub_nc_u16 v89, v68, v90
	v_mul_lo_u16 v90, v125, 17
	v_sub_nc_u16 v91, v69, v91
	v_and_b32_e32 v73, 0xff, v73
	v_sub_nc_u16 v74, v75, v74
	v_and_b32_e32 v75, 0xff, v89
	;; [unrolled: 2-line block ×3, first 2 shown]
	v_lshlrev_b32_e32 v127, 4, v73
	v_and_b32_e32 v73, 0xff, v74
	v_lshlrev_b32_e32 v75, 4, v75
	v_and_b32_e32 v74, 0xff, v88
	v_lshlrev_b32_e32 v128, 4, v89
	global_load_b128 v[88:91], v127, s[4:5]
	v_lshlrev_b32_e32 v129, 4, v73
	global_load_b128 v[92:95], v75, s[4:5]
	v_lshlrev_b32_e32 v130, 4, v74
	s_clause 0x2
	global_load_b128 v[96:99], v128, s[4:5]
	global_load_b128 v[100:103], v129, s[4:5]
	;; [unrolled: 1-line block ×3, first 2 shown]
	v_cmp_lt_u32_e64 s1, 16, v76
	v_lshlrev_b32_e32 v64, 4, v64
	global_wb scope:SCOPE_SE
	s_wait_loadcnt_dscnt 0x0
	s_barrier_signal -1
	s_barrier_wait -1
	global_inv scope:SCOPE_SE
	v_mul_f64_e32 v[73:74], v[62:63], v[82:83]
	v_mul_f64_e32 v[82:83], v[60:61], v[82:83]
	;; [unrolled: 1-line block ×14, first 2 shown]
	v_fma_f64 v[60:61], v[60:61], v[80:81], -v[73:74]
	v_fma_f64 v[62:63], v[62:63], v[80:81], v[82:83]
	v_fma_f64 v[73:74], v[36:37], v[84:85], -v[108:109]
	v_fma_f64 v[80:81], v[38:39], v[84:85], v[86:87]
	;; [unrolled: 2-line block ×7, first 2 shown]
	v_add_f64_e64 v[36:37], v[8:9], -v[60:61]
	v_add_f64_e64 v[38:39], v[10:11], -v[62:63]
	;; [unrolled: 1-line block ×4, first 2 shown]
	s_wait_alu 0xf1ff
	v_cndmask_b32_e64 v73, 0, 0x220, s1
	v_and_b32_e32 v74, 0xffff, v121
	v_and_b32_e32 v80, 0xffff, v122
	;; [unrolled: 1-line block ×3, first 2 shown]
	s_delay_alu instid0(VALU_DEP_4) | instskip(NEXT) | instid1(VALU_DEP_4)
	v_add_nc_u32_e32 v73, 0, v73
	v_mad_u32_u24 v74, 0x220, v74, 0
	s_delay_alu instid0(VALU_DEP_4) | instskip(NEXT) | instid1(VALU_DEP_4)
	v_mad_u32_u24 v80, 0x220, v80, 0
	v_mad_u32_u24 v81, 0x220, v81, 0
	s_delay_alu instid0(VALU_DEP_4)
	v_add3_u32 v64, v73, v64, v211
	v_and_b32_e32 v73, 0xffff, v120
	v_add3_u32 v74, v74, v127, v211
	v_add_f64_e64 v[44:45], v[20:21], -v[82:83]
	v_add_f64_e64 v[46:47], v[22:23], -v[84:85]
	;; [unrolled: 1-line block ×10, first 2 shown]
	v_and_b32_e32 v82, 0xffff, v124
	v_and_b32_e32 v83, 0xffff, v125
	v_mad_u32_u24 v73, 0x220, v73, 0
	v_add3_u32 v75, v80, v75, v211
	v_add3_u32 v80, v81, v128, v211
	v_mad_u32_u24 v82, 0x220, v82, 0
	v_mad_u32_u24 v83, 0x220, v83, 0
	v_add3_u32 v73, v73, v126, v211
	s_delay_alu instid0(VALU_DEP_3)
	v_add3_u32 v81, v82, v129, v211
	v_fma_f64 v[8:9], v[8:9], 2.0, -v[36:37]
	v_fma_f64 v[10:11], v[10:11], 2.0, -v[38:39]
	;; [unrolled: 1-line block ×4, first 2 shown]
	v_add3_u32 v82, v83, v130, v211
	v_fma_f64 v[20:21], v[20:21], 2.0, -v[44:45]
	v_fma_f64 v[22:23], v[22:23], 2.0, -v[46:47]
	;; [unrolled: 1-line block ×10, first 2 shown]
	ds_store_b128 v64, v[8:11]
	ds_store_b128 v64, v[36:39] offset:272
	ds_store_b128 v73, v[12:15]
	ds_store_b128 v73, v[40:43] offset:272
	;; [unrolled: 2-line block ×7, first 2 shown]
	s_and_saveexec_b32 s1, s0
	s_cbranch_execz .LBB0_16
; %bb.15:
	v_add_nc_u32_e32 v8, 0xee, v76
	s_delay_alu instid0(VALU_DEP_1) | instskip(NEXT) | instid1(VALU_DEP_1)
	v_and_b32_e32 v9, 0xffff, v8
	v_mul_u32_u24_e32 v9, 0xf0f1, v9
	s_delay_alu instid0(VALU_DEP_1) | instskip(NEXT) | instid1(VALU_DEP_1)
	v_lshrrev_b32_e32 v9, 20, v9
	v_mul_lo_u16 v9, v9, 17
	s_delay_alu instid0(VALU_DEP_1) | instskip(NEXT) | instid1(VALU_DEP_1)
	v_sub_nc_u16 v8, v8, v9
	v_and_b32_e32 v8, 0xffff, v8
	s_delay_alu instid0(VALU_DEP_1) | instskip(SKIP_4) | instid1(VALU_DEP_2)
	v_lshlrev_b32_e32 v14, 4, v8
	global_load_b128 v[8:11], v14, s[4:5]
	s_wait_loadcnt 0x0
	v_mul_f64_e32 v[12:13], v[4:5], v[10:11]
	v_mul_f64_e32 v[10:11], v[6:7], v[10:11]
	v_fma_f64 v[6:7], v[6:7], v[8:9], v[12:13]
	s_delay_alu instid0(VALU_DEP_2) | instskip(SKIP_1) | instid1(VALU_DEP_3)
	v_fma_f64 v[4:5], v[4:5], v[8:9], -v[10:11]
	v_add3_u32 v8, 0, v14, v211
	v_add_f64_e64 v[6:7], v[2:3], -v[6:7]
	s_delay_alu instid0(VALU_DEP_3) | instskip(NEXT) | instid1(VALU_DEP_2)
	v_add_f64_e64 v[4:5], v[0:1], -v[4:5]
	v_fma_f64 v[2:3], v[2:3], 2.0, -v[6:7]
	s_delay_alu instid0(VALU_DEP_2)
	v_fma_f64 v[0:1], v[0:1], 2.0, -v[4:5]
	ds_store_b128 v8, v[0:3] offset:7616
	ds_store_b128 v8, v[4:7] offset:7888
.LBB0_16:
	s_wait_alu 0xfffe
	s_or_b32 exec_lo, exec_lo, s1
	v_lshrrev_b16 v0, 13, v72
	v_lshlrev_b32_e32 v64, 1, v76
	v_lshrrev_b16 v2, 13, v71
	v_lshrrev_b16 v4, 13, v70
	global_wb scope:SCOPE_SE
	s_wait_dscnt 0x0
	v_mul_lo_u16 v3, v0, 34
	v_lshlrev_b64_e32 v[0:1], 4, v[64:65]
	v_mul_lo_u16 v2, v2, 34
	s_barrier_signal -1
	s_barrier_wait -1
	v_sub_nc_u16 v3, v66, v3
	global_inv scope:SCOPE_SE
	v_add_co_u32 v7, s1, s4, v0
	s_wait_alu 0xf1ff
	v_add_co_ci_u32_e64 v8, s1, s5, v1, s1
	v_mul_lo_u16 v1, v4, 34
	v_sub_nc_u16 v2, v68, v2
	v_and_b32_e32 v0, 0xff, v3
	s_clause 0x1
	global_load_b128 v[3:6], v[7:8], off offset:288
	global_load_b128 v[7:10], v[7:8], off offset:272
	s_mov_b32 s2, 0xe8584caa
	v_sub_nc_u16 v11, v69, v1
	v_and_b32_e32 v1, 0xff, v2
	v_lshlrev_b32_e32 v15, 5, v0
	s_mov_b32 s3, 0x3febb67a
	s_mov_b32 s7, 0xbfebb67a
	v_and_b32_e32 v2, 0xff, v11
	v_lshlrev_b32_e32 v23, 5, v1
	s_clause 0x1
	global_load_b128 v[11:14], v15, s[4:5] offset:272
	global_load_b128 v[15:18], v15, s[4:5] offset:288
	s_wait_alu 0xfffe
	s_mov_b32 s6, s2
	v_lshlrev_b32_e32 v0, 4, v0
	v_lshlrev_b32_e32 v31, 5, v2
	s_clause 0x3
	global_load_b128 v[19:22], v23, s[4:5] offset:272
	global_load_b128 v[23:26], v23, s[4:5] offset:288
	;; [unrolled: 1-line block ×4, first 2 shown]
	ds_load_b128 v[35:38], v77 offset:2720
	ds_load_b128 v[39:42], v77 offset:5440
	;; [unrolled: 1-line block ×11, first 2 shown]
	v_lshlrev_b32_e32 v1, 4, v1
	v_lshlrev_b32_e32 v2, 4, v2
	v_add3_u32 v0, 0, v0, v211
	s_mov_b32 s10, 0x134454ff
	s_mov_b32 s11, 0x3fee6f0e
	v_add3_u32 v1, 0, v1, v211
	v_add3_u32 v2, 0, v2, v211
	s_mov_b32 s13, 0xbfee6f0e
	s_wait_alu 0xfffe
	s_mov_b32 s12, s10
	s_wait_loadcnt_dscnt 0x709
	v_mul_f64_e32 v[90:91], v[41:42], v[5:6]
	s_wait_loadcnt 0x6
	v_mul_f64_e32 v[63:64], v[37:38], v[9:10]
	v_mul_f64_e32 v[88:89], v[35:36], v[9:10]
	;; [unrolled: 1-line block ×3, first 2 shown]
	s_wait_dscnt 0x8
	v_mul_f64_e32 v[94:95], v[45:46], v[9:10]
	v_mul_f64_e32 v[9:10], v[43:44], v[9:10]
	s_wait_dscnt 0x7
	v_mul_f64_e32 v[96:97], v[49:50], v[5:6]
	v_mul_f64_e32 v[5:6], v[47:48], v[5:6]
	s_wait_loadcnt_dscnt 0x506
	v_mul_f64_e32 v[98:99], v[53:54], v[13:14]
	v_mul_f64_e32 v[13:14], v[51:52], v[13:14]
	s_wait_loadcnt_dscnt 0x405
	;; [unrolled: 3-line block ×3, first 2 shown]
	v_mul_f64_e32 v[102:103], v[61:62], v[21:22]
	s_wait_loadcnt_dscnt 0x203
	v_mul_f64_e32 v[104:105], v[70:71], v[25:26]
	v_mul_f64_e32 v[21:22], v[59:60], v[21:22]
	;; [unrolled: 1-line block ×3, first 2 shown]
	s_wait_loadcnt_dscnt 0x102
	v_mul_f64_e32 v[106:107], v[74:75], v[29:30]
	s_wait_loadcnt_dscnt 0x1
	v_mul_f64_e32 v[108:109], v[82:83], v[33:34]
	v_mul_f64_e32 v[29:30], v[72:73], v[29:30]
	;; [unrolled: 1-line block ×3, first 2 shown]
	v_fma_f64 v[39:40], v[39:40], v[3:4], -v[90:91]
	v_fma_f64 v[35:36], v[35:36], v[7:8], -v[63:64]
	v_fma_f64 v[37:38], v[37:38], v[7:8], v[88:89]
	v_fma_f64 v[41:42], v[41:42], v[3:4], v[92:93]
	v_fma_f64 v[43:44], v[43:44], v[7:8], -v[94:95]
	v_fma_f64 v[45:46], v[45:46], v[7:8], v[9:10]
	v_fma_f64 v[47:48], v[47:48], v[3:4], -v[96:97]
	v_fma_f64 v[49:50], v[49:50], v[3:4], v[5:6]
	ds_load_b128 v[3:6], v208
	ds_load_b128 v[7:10], v77 offset:544
	v_fma_f64 v[51:52], v[51:52], v[11:12], -v[98:99]
	v_fma_f64 v[53:54], v[53:54], v[11:12], v[13:14]
	v_fma_f64 v[55:56], v[55:56], v[15:16], -v[100:101]
	v_fma_f64 v[57:58], v[57:58], v[15:16], v[17:18]
	v_fma_f64 v[59:60], v[59:60], v[19:20], -v[102:103]
	v_fma_f64 v[68:69], v[68:69], v[23:24], -v[104:105]
	v_fma_f64 v[19:20], v[61:62], v[19:20], v[21:22]
	v_fma_f64 v[21:22], v[70:71], v[23:24], v[25:26]
	v_fma_f64 v[23:24], v[72:73], v[27:28], -v[106:107]
	v_fma_f64 v[25:26], v[80:81], v[31:32], -v[108:109]
	v_fma_f64 v[27:28], v[74:75], v[27:28], v[29:30]
	v_fma_f64 v[29:30], v[82:83], v[31:32], v[33:34]
	ds_load_b128 v[11:14], v77 offset:1088
	ds_load_b128 v[15:18], v77 offset:1632
	global_wb scope:SCOPE_SE
	s_wait_dscnt 0x0
	s_barrier_signal -1
	s_barrier_wait -1
	global_inv scope:SCOPE_SE
	v_add_f64_e32 v[31:32], v[35:36], v[39:40]
	v_add_f64_e32 v[90:91], v[3:4], v[35:36]
	;; [unrolled: 1-line block ×3, first 2 shown]
	v_add_f64_e64 v[92:93], v[37:38], -v[41:42]
	v_add_f64_e32 v[37:38], v[5:6], v[37:38]
	v_add_f64_e32 v[61:62], v[43:44], v[47:48]
	;; [unrolled: 1-line block ×3, first 2 shown]
	v_add_f64_e64 v[35:36], v[35:36], -v[39:40]
	v_add_f64_e32 v[94:95], v[7:8], v[43:44]
	v_add_f64_e32 v[96:97], v[9:10], v[45:46]
	v_add_f64_e64 v[45:46], v[45:46], -v[49:50]
	v_add_f64_e32 v[70:71], v[51:52], v[55:56]
	v_add_f64_e32 v[72:73], v[53:54], v[57:58]
	;; [unrolled: 3-line block ×3, first 2 shown]
	v_add_f64_e32 v[80:81], v[19:20], v[21:22]
	v_add_f64_e32 v[106:107], v[84:85], v[23:24]
	;; [unrolled: 1-line block ×7, first 2 shown]
	v_add_f64_e64 v[53:54], v[53:54], -v[57:58]
	v_add_f64_e64 v[51:52], v[51:52], -v[55:56]
	v_add_f64_e32 v[102:103], v[15:16], v[59:60]
	v_add_f64_e64 v[112:113], v[19:20], -v[21:22]
	v_add_f64_e64 v[59:60], v[59:60], -v[68:69]
	;; [unrolled: 1-line block ×3, first 2 shown]
	v_fma_f64 v[31:32], v[31:32], -0.5, v[3:4]
	v_add_f64_e32 v[3:4], v[90:91], v[39:40]
	v_fma_f64 v[33:34], v[33:34], -0.5, v[5:6]
	v_add_f64_e32 v[5:6], v[37:38], v[41:42]
	v_fma_f64 v[61:62], v[61:62], -0.5, v[7:8]
	v_fma_f64 v[110:111], v[63:64], -0.5, v[9:10]
	v_lshlrev_b32_e32 v64, 2, v76
	v_add_f64_e32 v[7:8], v[94:95], v[47:48]
	v_add_f64_e32 v[9:10], v[96:97], v[49:50]
	v_fma_f64 v[70:71], v[70:71], -0.5, v[11:12]
	v_fma_f64 v[72:73], v[72:73], -0.5, v[13:14]
	;; [unrolled: 1-line block ×4, first 2 shown]
	v_add_f64_e32 v[19:20], v[106:107], v[25:26]
	v_fma_f64 v[82:83], v[82:83], -0.5, v[84:85]
	v_add_f64_e64 v[84:85], v[23:24], -v[25:26]
	v_fma_f64 v[86:87], v[88:89], -0.5, v[86:87]
	v_add_f64_e32 v[17:18], v[104:105], v[21:22]
	v_add_f64_e32 v[21:22], v[108:109], v[29:30]
	;; [unrolled: 1-line block ×5, first 2 shown]
	v_lshlrev_b64_e32 v[68:69], 4, v[64:65]
	v_lshlrev_b32_e32 v64, 2, v67
	v_fma_f64 v[23:24], v[92:93], s[2:3], v[31:32]
	v_fma_f64 v[27:28], v[92:93], s[6:7], v[31:32]
	;; [unrolled: 1-line block ×20, first 2 shown]
	v_lshlrev_b64_e32 v[70:71], 4, v[64:65]
	v_lshlrev_b32_e32 v64, 2, v66
	v_add_co_u32 v66, s1, s4, v68
	s_wait_alu 0xf1ff
	v_add_co_ci_u32_e64 v67, s1, s5, v69, s1
	s_mov_b32 s2, 0x4755a5e
	s_mov_b32 s3, 0x3fe2cf23
	;; [unrolled: 1-line block ×3, first 2 shown]
	s_wait_alu 0xfffe
	s_mov_b32 s6, s2
	ds_store_b128 v77, v[3:6]
	ds_store_b128 v77, v[23:26] offset:544
	ds_store_b128 v77, v[27:30] offset:1088
	;; [unrolled: 1-line block ×14, first 2 shown]
	v_lshlrev_b64_e32 v[24:25], 4, v[64:65]
	v_add_co_u32 v28, s1, s4, v70
	s_wait_alu 0xf1ff
	v_add_co_ci_u32_e64 v29, s1, s5, v71, s1
	global_wb scope:SCOPE_SE
	s_wait_dscnt 0x0
	s_barrier_signal -1
	s_barrier_wait -1
	global_inv scope:SCOPE_SE
	s_clause 0x1
	global_load_b128 v[0:3], v[66:67], off offset:1360
	global_load_b128 v[4:7], v[66:67], off offset:1376
	v_add_co_u32 v44, s1, s4, v24
	s_clause 0x3
	global_load_b128 v[8:11], v[66:67], off offset:1392
	global_load_b128 v[12:15], v[66:67], off offset:1408
	;; [unrolled: 1-line block ×4, first 2 shown]
	s_wait_alu 0xf1ff
	v_add_co_ci_u32_e64 v45, s1, s5, v25, s1
	s_clause 0x5
	global_load_b128 v[24:27], v[28:29], off offset:1392
	global_load_b128 v[28:31], v[28:29], off offset:1408
	;; [unrolled: 1-line block ×6, first 2 shown]
	ds_load_b128 v[48:51], v77 offset:1632
	ds_load_b128 v[52:55], v77 offset:3264
	;; [unrolled: 1-line block ×13, first 2 shown]
	s_wait_loadcnt_dscnt 0xb0c
	v_mul_f64_e32 v[104:105], v[50:51], v[2:3]
	v_mul_f64_e32 v[2:3], v[48:49], v[2:3]
	s_wait_loadcnt_dscnt 0xa0b
	v_mul_f64_e32 v[106:107], v[54:55], v[6:7]
	v_mul_f64_e32 v[6:7], v[52:53], v[6:7]
	;; [unrolled: 3-line block ×5, first 2 shown]
	s_wait_dscnt 0x7
	v_mul_f64_e32 v[114:115], v[70:71], v[18:19]
	v_mul_f64_e32 v[18:19], v[68:69], v[18:19]
	s_wait_loadcnt_dscnt 0x506
	v_mul_f64_e32 v[116:117], v[74:75], v[26:27]
	v_mul_f64_e32 v[26:27], v[72:73], v[26:27]
	s_wait_loadcnt_dscnt 0x405
	;; [unrolled: 3-line block ×6, first 2 shown]
	v_mul_f64_e32 v[126:127], v[102:103], v[46:47]
	v_mul_f64_e32 v[46:47], v[100:101], v[46:47]
	v_fma_f64 v[48:49], v[48:49], v[0:1], -v[104:105]
	v_fma_f64 v[50:51], v[50:51], v[0:1], v[2:3]
	v_fma_f64 v[52:53], v[52:53], v[4:5], -v[106:107]
	v_fma_f64 v[54:55], v[54:55], v[4:5], v[6:7]
	;; [unrolled: 2-line block ×12, first 2 shown]
	ds_load_b128 v[0:3], v208
	ds_load_b128 v[4:7], v77 offset:544
	global_wb scope:SCOPE_SE
	s_wait_dscnt 0x0
	s_barrier_signal -1
	s_barrier_wait -1
	global_inv scope:SCOPE_SE
	v_add_f64_e64 v[70:71], v[48:49], -v[52:53]
	v_add_f64_e64 v[82:83], v[52:53], -v[48:49]
	v_add_f64_e32 v[46:47], v[52:53], v[56:57]
	v_add_f64_e32 v[64:65], v[54:55], v[8:9]
	;; [unrolled: 1-line block ×12, first 2 shown]
	v_add_f64_e64 v[62:63], v[50:51], -v[12:13]
	v_add_f64_e64 v[66:67], v[54:55], -v[8:9]
	;; [unrolled: 1-line block ×4, first 2 shown]
	v_add_f64_e32 v[96:97], v[34:35], v[38:39]
	v_add_f64_e32 v[98:99], v[36:37], v[40:41]
	v_add_f64_e32 v[100:101], v[30:31], v[42:43]
	v_add_f64_e32 v[102:103], v[32:33], v[44:45]
	v_add_f64_e64 v[104:105], v[52:53], -v[56:57]
	v_add_f64_e64 v[106:107], v[50:51], -v[54:55]
	;; [unrolled: 1-line block ×3, first 2 shown]
	v_add_f64_e32 v[130:131], v[84:85], v[30:31]
	v_add_f64_e64 v[48:49], v[48:49], -v[10:11]
	v_add_f64_e64 v[50:51], v[54:55], -v[50:51]
	;; [unrolled: 1-line block ×5, first 2 shown]
	v_add_f64_e32 v[132:133], v[86:87], v[32:33]
	v_add_f64_e64 v[114:115], v[20:21], -v[28:29]
	v_add_f64_e64 v[118:119], v[14:15], -v[22:23]
	;; [unrolled: 1-line block ×8, first 2 shown]
	v_fma_f64 v[46:47], v[46:47], -0.5, v[0:1]
	v_fma_f64 v[64:65], v[64:65], -0.5, v[2:3]
	v_fma_f64 v[0:1], v[60:61], -0.5, v[0:1]
	v_fma_f64 v[2:3], v[68:69], -0.5, v[2:3]
	v_add_f64_e64 v[20:21], v[16:17], -v[20:21]
	v_add_f64_e64 v[68:69], v[24:25], -v[28:29]
	v_add_f64_e32 v[52:53], v[58:59], v[52:53]
	v_add_f64_e32 v[54:55], v[94:95], v[54:55]
	v_fma_f64 v[72:73], v[72:73], -0.5, v[4:5]
	v_add_f64_e32 v[22:23], v[112:113], v[22:23]
	v_fma_f64 v[4:5], v[80:81], -0.5, v[4:5]
	v_fma_f64 v[88:89], v[88:89], -0.5, v[6:7]
	;; [unrolled: 1-line block ×3, first 2 shown]
	v_add_f64_e64 v[80:81], v[36:37], -v[40:41]
	v_add_f64_e32 v[16:17], v[126:127], v[16:17]
	v_add_f64_e64 v[120:121], v[26:27], -v[18:19]
	v_fma_f64 v[96:97], v[96:97], -0.5, v[84:85]
	v_fma_f64 v[98:99], v[98:99], -0.5, v[86:87]
	;; [unrolled: 1-line block ×4, first 2 shown]
	v_add_f64_e64 v[124:125], v[18:19], -v[26:27]
	v_add_f64_e64 v[90:91], v[30:31], -v[34:35]
	;; [unrolled: 1-line block ×6, first 2 shown]
	v_add_f64_e32 v[58:59], v[70:71], v[74:75]
	v_add_f64_e32 v[70:71], v[82:83], v[92:93]
	;; [unrolled: 1-line block ×6, first 2 shown]
	v_add_f64_e64 v[60:61], v[28:29], -v[24:25]
	v_add_f64_e64 v[100:101], v[42:43], -v[38:39]
	;; [unrolled: 1-line block ×4, first 2 shown]
	v_fma_f64 v[82:83], v[62:63], s[10:11], v[46:47]
	v_fma_f64 v[46:47], v[62:63], s[12:13], v[46:47]
	;; [unrolled: 1-line block ×24, first 2 shown]
	v_add_f64_e32 v[68:69], v[20:21], v[68:69]
	v_add_f64_e32 v[20:21], v[52:53], v[56:57]
	;; [unrolled: 1-line block ×14, first 2 shown]
	v_fma_f64 v[30:31], v[66:67], s[2:3], v[82:83]
	s_wait_alu 0xfffe
	v_fma_f64 v[32:33], v[66:67], s[6:7], v[46:47]
	v_fma_f64 v[34:35], v[62:63], s[2:3], v[92:93]
	;; [unrolled: 1-line block ×23, first 2 shown]
	s_mov_b32 s2, 0x372fe950
	s_mov_b32 s3, 0x3fd3c6ef
	v_add_f64_e32 v[0:1], v[20:21], v[10:11]
	v_add_f64_e32 v[2:3], v[8:9], v[12:13]
	;; [unrolled: 1-line block ×6, first 2 shown]
	s_wait_alu 0xfffe
	v_fma_f64 v[12:13], v[58:59], s[2:3], v[30:31]
	v_fma_f64 v[16:17], v[58:59], s[2:3], v[32:33]
	v_fma_f64 v[20:21], v[70:71], s[2:3], v[34:35]
	v_fma_f64 v[22:23], v[50:51], s[2:3], v[46:47]
	v_fma_f64 v[24:25], v[70:71], s[2:3], v[36:37]
	v_fma_f64 v[14:15], v[74:75], s[2:3], v[38:39]
	v_fma_f64 v[18:19], v[74:75], s[2:3], v[40:41]
	v_fma_f64 v[26:27], v[50:51], s[2:3], v[48:49]
	v_fma_f64 v[28:29], v[118:119], s[2:3], v[52:53]
	v_fma_f64 v[32:33], v[118:119], s[2:3], v[54:55]
	v_fma_f64 v[36:37], v[120:121], s[2:3], v[56:57]
	v_fma_f64 v[38:39], v[68:69], s[2:3], v[64:65]
	v_fma_f64 v[30:31], v[60:61], s[2:3], v[66:67]
	v_fma_f64 v[34:35], v[60:61], s[2:3], v[72:73]
	v_fma_f64 v[42:43], v[68:69], s[2:3], v[82:83]
	v_fma_f64 v[40:41], v[120:121], s[2:3], v[62:63]
	v_fma_f64 v[44:45], v[90:91], s[2:3], v[88:89]
	v_fma_f64 v[46:47], v[102:103], s[2:3], v[92:93]
	v_fma_f64 v[48:49], v[90:91], s[2:3], v[80:81]
	v_fma_f64 v[52:53], v[100:101], s[2:3], v[94:95]
	v_fma_f64 v[54:55], v[122:123], s[2:3], v[96:97]
	v_fma_f64 v[56:57], v[100:101], s[2:3], v[84:85]
	v_fma_f64 v[58:59], v[122:123], s[2:3], v[86:87]
	v_fma_f64 v[50:51], v[102:103], s[2:3], v[98:99]
	ds_store_b128 v77, v[0:3]
	ds_store_b128 v77, v[4:7] offset:544
	ds_store_b128 v77, v[20:23] offset:3264
	ds_store_b128 v77, v[36:39] offset:3808
	ds_store_b128 v77, v[16:19] offset:6528
	ds_store_b128 v77, v[32:35] offset:7072
	ds_store_b128 v77, v[12:15] offset:1632
	ds_store_b128 v77, v[8:11] offset:1088
	ds_store_b128 v77, v[28:31] offset:2176
	ds_store_b128 v77, v[44:47] offset:2720
	ds_store_b128 v77, v[24:27] offset:4896
	ds_store_b128 v77, v[52:55] offset:4352
	ds_store_b128 v77, v[40:43] offset:5440
	ds_store_b128 v77, v[56:59] offset:5984
	ds_store_b128 v77, v[48:51] offset:7616
	global_wb scope:SCOPE_SE
	s_wait_dscnt 0x0
	s_barrier_signal -1
	s_barrier_wait -1
	global_inv scope:SCOPE_SE
	ds_load_b128 v[4:7], v208
	v_sub_nc_u32_e32 v12, v210, v209
	s_mov_b32 s2, exec_lo
                                        ; implicit-def: $vgpr2_vgpr3
                                        ; implicit-def: $vgpr8_vgpr9
                                        ; implicit-def: $vgpr10_vgpr11
	v_cmpx_ne_u32_e32 0, v76
	s_wait_alu 0xfffe
	s_xor_b32 s2, exec_lo, s2
	s_cbranch_execz .LBB0_18
; %bb.17:
	v_mov_b32_e32 v77, 0
                                        ; implicit-def: $vgpr210
	s_delay_alu instid0(VALU_DEP_1) | instskip(NEXT) | instid1(VALU_DEP_1)
	v_lshlrev_b64_e32 v[0:1], 4, v[76:77]
	v_add_co_u32 v0, s1, s4, v0
	s_wait_alu 0xf1ff
	s_delay_alu instid0(VALU_DEP_2)
	v_add_co_ci_u32_e64 v1, s1, s5, v1, s1
	global_load_b128 v[13:16], v[0:1], off offset:7888
	ds_load_b128 v[0:3], v12 offset:8160
	s_wait_dscnt 0x0
	v_add_f64_e64 v[8:9], v[4:5], -v[0:1]
	v_add_f64_e32 v[10:11], v[6:7], v[2:3]
	v_add_f64_e64 v[2:3], v[6:7], -v[2:3]
	v_add_f64_e32 v[0:1], v[4:5], v[0:1]
	s_delay_alu instid0(VALU_DEP_4) | instskip(NEXT) | instid1(VALU_DEP_4)
	v_mul_f64_e32 v[6:7], 0.5, v[8:9]
	v_mul_f64_e32 v[4:5], 0.5, v[10:11]
	s_delay_alu instid0(VALU_DEP_4) | instskip(SKIP_1) | instid1(VALU_DEP_3)
	v_mul_f64_e32 v[2:3], 0.5, v[2:3]
	s_wait_loadcnt 0x0
	v_mul_f64_e32 v[8:9], v[6:7], v[15:16]
	s_delay_alu instid0(VALU_DEP_2) | instskip(SKIP_1) | instid1(VALU_DEP_3)
	v_fma_f64 v[10:11], v[4:5], v[15:16], v[2:3]
	v_fma_f64 v[2:3], v[4:5], v[15:16], -v[2:3]
	v_fma_f64 v[17:18], v[0:1], 0.5, v[8:9]
	v_fma_f64 v[0:1], v[0:1], 0.5, -v[8:9]
	s_delay_alu instid0(VALU_DEP_4) | instskip(NEXT) | instid1(VALU_DEP_4)
	v_fma_f64 v[8:9], -v[13:14], v[6:7], v[10:11]
	v_fma_f64 v[2:3], -v[13:14], v[6:7], v[2:3]
	v_dual_mov_b32 v10, v76 :: v_dual_mov_b32 v11, v77
	v_fma_f64 v[15:16], v[4:5], v[13:14], v[17:18]
	v_fma_f64 v[0:1], -v[4:5], v[13:14], v[0:1]
                                        ; implicit-def: $vgpr4_vgpr5
	ds_store_b64 v208, v[15:16]
.LBB0_18:
	s_wait_alu 0xfffe
	s_and_not1_saveexec_b32 s1, s2
	s_cbranch_execz .LBB0_20
; %bb.19:
	s_wait_dscnt 0x0
	v_add_f64_e32 v[13:14], v[4:5], v[6:7]
	v_add_f64_e64 v[0:1], v[4:5], -v[6:7]
	ds_load_b64 v[4:5], v210 offset:4088
	v_mov_b32_e32 v8, 0
	v_dual_mov_b32 v9, 0 :: v_dual_mov_b32 v10, 0
	s_delay_alu instid0(VALU_DEP_2) | instskip(NEXT) | instid1(VALU_DEP_2)
	v_dual_mov_b32 v11, 0 :: v_dual_mov_b32 v2, v8
	v_mov_b32_e32 v3, v9
	s_wait_dscnt 0x0
	v_xor_b32_e32 v5, 0x80000000, v5
	ds_store_b64 v208, v[13:14]
	ds_store_b64 v210, v[4:5] offset:4088
.LBB0_20:
	s_wait_alu 0xfffe
	s_or_b32 exec_lo, exec_lo, s1
	s_wait_dscnt 0x0
	v_lshlrev_b64_e32 v[4:5], 4, v[10:11]
	s_add_nc_u64 s[2:3], s[4:5], 0x1ed0
	s_wait_alu 0xfffe
	s_delay_alu instid0(VALU_DEP_1) | instskip(SKIP_1) | instid1(VALU_DEP_2)
	v_add_co_u32 v6, s1, s2, v4
	s_wait_alu 0xf1ff
	v_add_co_ci_u32_e64 v7, s1, s3, v5, s1
	s_clause 0x1
	global_load_b128 v[13:16], v[6:7], off offset:544
	global_load_b128 v[17:20], v[6:7], off offset:1088
	ds_store_b64 v208, v[8:9] offset:8
	ds_store_b128 v12, v[0:3] offset:8160
	ds_load_b128 v[0:3], v208 offset:544
	ds_load_b128 v[8:11], v12 offset:7616
	s_wait_dscnt 0x0
	v_add_f64_e64 v[21:22], v[0:1], -v[8:9]
	v_add_f64_e32 v[23:24], v[2:3], v[10:11]
	v_add_f64_e64 v[2:3], v[2:3], -v[10:11]
	v_add_f64_e32 v[0:1], v[0:1], v[8:9]
	s_delay_alu instid0(VALU_DEP_4) | instskip(NEXT) | instid1(VALU_DEP_4)
	v_mul_f64_e32 v[10:11], 0.5, v[21:22]
	v_mul_f64_e32 v[21:22], 0.5, v[23:24]
	s_delay_alu instid0(VALU_DEP_4) | instskip(SKIP_1) | instid1(VALU_DEP_3)
	v_mul_f64_e32 v[2:3], 0.5, v[2:3]
	s_wait_loadcnt 0x1
	v_mul_f64_e32 v[8:9], v[10:11], v[15:16]
	s_delay_alu instid0(VALU_DEP_2) | instskip(SKIP_1) | instid1(VALU_DEP_3)
	v_fma_f64 v[23:24], v[21:22], v[15:16], v[2:3]
	v_fma_f64 v[15:16], v[21:22], v[15:16], -v[2:3]
	v_fma_f64 v[25:26], v[0:1], 0.5, v[8:9]
	v_fma_f64 v[8:9], v[0:1], 0.5, -v[8:9]
	s_delay_alu instid0(VALU_DEP_4) | instskip(NEXT) | instid1(VALU_DEP_4)
	v_fma_f64 v[2:3], -v[13:14], v[10:11], v[23:24]
	v_fma_f64 v[10:11], -v[13:14], v[10:11], v[15:16]
	s_delay_alu instid0(VALU_DEP_4) | instskip(NEXT) | instid1(VALU_DEP_4)
	v_fma_f64 v[0:1], v[21:22], v[13:14], v[25:26]
	v_fma_f64 v[8:9], -v[21:22], v[13:14], v[8:9]
	global_load_b128 v[13:16], v[6:7], off offset:1632
	ds_store_b128 v208, v[0:3] offset:544
	ds_store_b128 v12, v[8:11] offset:7616
	ds_load_b128 v[0:3], v208 offset:1088
	ds_load_b128 v[8:11], v12 offset:7072
	s_wait_dscnt 0x0
	v_add_f64_e64 v[21:22], v[0:1], -v[8:9]
	v_add_f64_e32 v[23:24], v[2:3], v[10:11]
	v_add_f64_e64 v[2:3], v[2:3], -v[10:11]
	v_add_f64_e32 v[0:1], v[0:1], v[8:9]
	s_delay_alu instid0(VALU_DEP_4) | instskip(NEXT) | instid1(VALU_DEP_4)
	v_mul_f64_e32 v[10:11], 0.5, v[21:22]
	v_mul_f64_e32 v[21:22], 0.5, v[23:24]
	s_delay_alu instid0(VALU_DEP_4) | instskip(SKIP_1) | instid1(VALU_DEP_3)
	v_mul_f64_e32 v[2:3], 0.5, v[2:3]
	s_wait_loadcnt 0x1
	v_mul_f64_e32 v[8:9], v[10:11], v[19:20]
	s_delay_alu instid0(VALU_DEP_2) | instskip(SKIP_1) | instid1(VALU_DEP_3)
	v_fma_f64 v[23:24], v[21:22], v[19:20], v[2:3]
	v_fma_f64 v[19:20], v[21:22], v[19:20], -v[2:3]
	v_fma_f64 v[25:26], v[0:1], 0.5, v[8:9]
	v_fma_f64 v[8:9], v[0:1], 0.5, -v[8:9]
	s_delay_alu instid0(VALU_DEP_4) | instskip(NEXT) | instid1(VALU_DEP_4)
	v_fma_f64 v[2:3], -v[17:18], v[10:11], v[23:24]
	v_fma_f64 v[10:11], -v[17:18], v[10:11], v[19:20]
	s_delay_alu instid0(VALU_DEP_4) | instskip(NEXT) | instid1(VALU_DEP_4)
	v_fma_f64 v[0:1], v[21:22], v[17:18], v[25:26]
	v_fma_f64 v[8:9], -v[21:22], v[17:18], v[8:9]
	global_load_b128 v[17:20], v[6:7], off offset:2176
	ds_store_b128 v208, v[0:3] offset:1088
	;; [unrolled: 28-line block ×4, first 2 shown]
	ds_store_b128 v12, v[8:11] offset:5984
	ds_load_b128 v[0:3], v208 offset:2720
	ds_load_b128 v[8:11], v12 offset:5440
	s_wait_dscnt 0x0
	v_add_f64_e64 v[21:22], v[0:1], -v[8:9]
	v_add_f64_e32 v[23:24], v[2:3], v[10:11]
	v_add_f64_e64 v[2:3], v[2:3], -v[10:11]
	v_add_f64_e32 v[0:1], v[0:1], v[8:9]
	s_delay_alu instid0(VALU_DEP_4) | instskip(NEXT) | instid1(VALU_DEP_4)
	v_mul_f64_e32 v[10:11], 0.5, v[21:22]
	v_mul_f64_e32 v[21:22], 0.5, v[23:24]
	s_delay_alu instid0(VALU_DEP_4) | instskip(SKIP_1) | instid1(VALU_DEP_3)
	v_mul_f64_e32 v[2:3], 0.5, v[2:3]
	s_wait_loadcnt 0x1
	v_mul_f64_e32 v[8:9], v[10:11], v[15:16]
	s_delay_alu instid0(VALU_DEP_2) | instskip(SKIP_1) | instid1(VALU_DEP_3)
	v_fma_f64 v[23:24], v[21:22], v[15:16], v[2:3]
	v_fma_f64 v[15:16], v[21:22], v[15:16], -v[2:3]
	v_fma_f64 v[25:26], v[0:1], 0.5, v[8:9]
	v_fma_f64 v[8:9], v[0:1], 0.5, -v[8:9]
	s_delay_alu instid0(VALU_DEP_4) | instskip(NEXT) | instid1(VALU_DEP_4)
	v_fma_f64 v[2:3], -v[13:14], v[10:11], v[23:24]
	v_fma_f64 v[10:11], -v[13:14], v[10:11], v[15:16]
	s_delay_alu instid0(VALU_DEP_4) | instskip(NEXT) | instid1(VALU_DEP_4)
	v_fma_f64 v[0:1], v[21:22], v[13:14], v[25:26]
	v_fma_f64 v[8:9], -v[21:22], v[13:14], v[8:9]
	ds_store_b128 v208, v[0:3] offset:2720
	ds_store_b128 v12, v[8:11] offset:5440
	ds_load_b128 v[0:3], v208 offset:3264
	ds_load_b128 v[8:11], v12 offset:4896
	s_wait_dscnt 0x0
	v_add_f64_e64 v[13:14], v[0:1], -v[8:9]
	v_add_f64_e32 v[15:16], v[2:3], v[10:11]
	v_add_f64_e64 v[2:3], v[2:3], -v[10:11]
	v_add_f64_e32 v[0:1], v[0:1], v[8:9]
	s_delay_alu instid0(VALU_DEP_4) | instskip(NEXT) | instid1(VALU_DEP_4)
	v_mul_f64_e32 v[10:11], 0.5, v[13:14]
	v_mul_f64_e32 v[13:14], 0.5, v[15:16]
	s_delay_alu instid0(VALU_DEP_4) | instskip(SKIP_1) | instid1(VALU_DEP_3)
	v_mul_f64_e32 v[2:3], 0.5, v[2:3]
	s_wait_loadcnt 0x0
	v_mul_f64_e32 v[8:9], v[10:11], v[19:20]
	s_delay_alu instid0(VALU_DEP_2) | instskip(SKIP_1) | instid1(VALU_DEP_3)
	v_fma_f64 v[15:16], v[13:14], v[19:20], v[2:3]
	v_fma_f64 v[19:20], v[13:14], v[19:20], -v[2:3]
	v_fma_f64 v[21:22], v[0:1], 0.5, v[8:9]
	v_fma_f64 v[8:9], v[0:1], 0.5, -v[8:9]
	s_delay_alu instid0(VALU_DEP_4) | instskip(NEXT) | instid1(VALU_DEP_4)
	v_fma_f64 v[2:3], -v[17:18], v[10:11], v[15:16]
	v_fma_f64 v[10:11], -v[17:18], v[10:11], v[19:20]
	s_delay_alu instid0(VALU_DEP_4) | instskip(NEXT) | instid1(VALU_DEP_4)
	v_fma_f64 v[0:1], v[13:14], v[17:18], v[21:22]
	v_fma_f64 v[8:9], -v[13:14], v[17:18], v[8:9]
	ds_store_b128 v208, v[0:3] offset:3264
	ds_store_b128 v12, v[8:11] offset:4896
	s_and_saveexec_b32 s1, s0
	s_cbranch_execz .LBB0_22
; %bb.21:
	global_load_b128 v[0:3], v[6:7], off offset:3808
	ds_load_b128 v[6:9], v208 offset:3808
	ds_load_b128 v[13:16], v12 offset:4352
	s_wait_dscnt 0x0
	v_add_f64_e64 v[10:11], v[6:7], -v[13:14]
	v_add_f64_e32 v[17:18], v[8:9], v[15:16]
	v_add_f64_e64 v[8:9], v[8:9], -v[15:16]
	v_add_f64_e32 v[6:7], v[6:7], v[13:14]
	s_delay_alu instid0(VALU_DEP_4) | instskip(NEXT) | instid1(VALU_DEP_4)
	v_mul_f64_e32 v[10:11], 0.5, v[10:11]
	v_mul_f64_e32 v[15:16], 0.5, v[17:18]
	s_delay_alu instid0(VALU_DEP_4) | instskip(SKIP_1) | instid1(VALU_DEP_3)
	v_mul_f64_e32 v[8:9], 0.5, v[8:9]
	s_wait_loadcnt 0x0
	v_mul_f64_e32 v[13:14], v[10:11], v[2:3]
	s_delay_alu instid0(VALU_DEP_2) | instskip(SKIP_1) | instid1(VALU_DEP_3)
	v_fma_f64 v[17:18], v[15:16], v[2:3], v[8:9]
	v_fma_f64 v[2:3], v[15:16], v[2:3], -v[8:9]
	v_fma_f64 v[19:20], v[6:7], 0.5, v[13:14]
	v_fma_f64 v[13:14], v[6:7], 0.5, -v[13:14]
	s_delay_alu instid0(VALU_DEP_4) | instskip(NEXT) | instid1(VALU_DEP_4)
	v_fma_f64 v[8:9], -v[0:1], v[10:11], v[17:18]
	v_fma_f64 v[2:3], -v[0:1], v[10:11], v[2:3]
	s_delay_alu instid0(VALU_DEP_4) | instskip(NEXT) | instid1(VALU_DEP_4)
	v_fma_f64 v[6:7], v[15:16], v[0:1], v[19:20]
	v_fma_f64 v[0:1], -v[15:16], v[0:1], v[13:14]
	ds_store_b128 v208, v[6:9] offset:3808
	ds_store_b128 v12, v[0:3] offset:4352
.LBB0_22:
	s_wait_alu 0xfffe
	s_or_b32 exec_lo, exec_lo, s1
	global_wb scope:SCOPE_SE
	s_wait_dscnt 0x0
	s_barrier_signal -1
	s_barrier_wait -1
	global_inv scope:SCOPE_SE
	s_and_saveexec_b32 s0, vcc_lo
	s_cbranch_execz .LBB0_25
; %bb.23:
	v_add_co_u32 v0, vcc_lo, s8, v78
	s_wait_alu 0xfffd
	v_add_co_ci_u32_e32 v1, vcc_lo, s9, v79, vcc_lo
	ds_load_b128 v[6:9], v208
	ds_load_b128 v[10:13], v208 offset:544
	ds_load_b128 v[14:17], v208 offset:1088
	;; [unrolled: 1-line block ×9, first 2 shown]
	v_add_co_u32 v62, vcc_lo, v0, v4
	s_wait_alu 0xfffd
	v_add_co_ci_u32_e32 v63, vcc_lo, v1, v5, vcc_lo
	ds_load_b128 v[2:5], v208 offset:5440
	ds_load_b128 v[46:49], v208 offset:5984
	;; [unrolled: 1-line block ×5, first 2 shown]
	v_cmp_eq_u32_e32 vcc_lo, 33, v76
	s_wait_dscnt 0xe
	global_store_b128 v[62:63], v[6:9], off
	s_wait_dscnt 0xd
	global_store_b128 v[62:63], v[10:13], off offset:544
	s_wait_dscnt 0xc
	global_store_b128 v[62:63], v[14:17], off offset:1088
	;; [unrolled: 2-line block ×14, first 2 shown]
	s_and_b32 exec_lo, exec_lo, vcc_lo
	s_cbranch_execz .LBB0_25
; %bb.24:
	ds_load_b128 v[2:5], v208 offset:7632
	s_wait_dscnt 0x0
	global_store_b128 v[0:1], v[2:5], off offset:8160
.LBB0_25:
	s_nop 0
	s_sendmsg sendmsg(MSG_DEALLOC_VGPRS)
	s_endpgm
	.section	.rodata,"a",@progbits
	.p2align	6, 0x0
	.amdhsa_kernel fft_rtc_fwd_len510_factors_17_2_3_5_wgs_238_tpt_34_halfLds_dp_ip_CI_unitstride_sbrr_R2C_dirReg
		.amdhsa_group_segment_fixed_size 0
		.amdhsa_private_segment_fixed_size 0
		.amdhsa_kernarg_size 88
		.amdhsa_user_sgpr_count 2
		.amdhsa_user_sgpr_dispatch_ptr 0
		.amdhsa_user_sgpr_queue_ptr 0
		.amdhsa_user_sgpr_kernarg_segment_ptr 1
		.amdhsa_user_sgpr_dispatch_id 0
		.amdhsa_user_sgpr_private_segment_size 0
		.amdhsa_wavefront_size32 1
		.amdhsa_uses_dynamic_stack 0
		.amdhsa_enable_private_segment 0
		.amdhsa_system_sgpr_workgroup_id_x 1
		.amdhsa_system_sgpr_workgroup_id_y 0
		.amdhsa_system_sgpr_workgroup_id_z 0
		.amdhsa_system_sgpr_workgroup_info 0
		.amdhsa_system_vgpr_workitem_id 0
		.amdhsa_next_free_vgpr 250
		.amdhsa_next_free_sgpr 54
		.amdhsa_reserve_vcc 1
		.amdhsa_float_round_mode_32 0
		.amdhsa_float_round_mode_16_64 0
		.amdhsa_float_denorm_mode_32 3
		.amdhsa_float_denorm_mode_16_64 3
		.amdhsa_fp16_overflow 0
		.amdhsa_workgroup_processor_mode 1
		.amdhsa_memory_ordered 1
		.amdhsa_forward_progress 0
		.amdhsa_round_robin_scheduling 0
		.amdhsa_exception_fp_ieee_invalid_op 0
		.amdhsa_exception_fp_denorm_src 0
		.amdhsa_exception_fp_ieee_div_zero 0
		.amdhsa_exception_fp_ieee_overflow 0
		.amdhsa_exception_fp_ieee_underflow 0
		.amdhsa_exception_fp_ieee_inexact 0
		.amdhsa_exception_int_div_zero 0
	.end_amdhsa_kernel
	.text
.Lfunc_end0:
	.size	fft_rtc_fwd_len510_factors_17_2_3_5_wgs_238_tpt_34_halfLds_dp_ip_CI_unitstride_sbrr_R2C_dirReg, .Lfunc_end0-fft_rtc_fwd_len510_factors_17_2_3_5_wgs_238_tpt_34_halfLds_dp_ip_CI_unitstride_sbrr_R2C_dirReg
                                        ; -- End function
	.section	.AMDGPU.csdata,"",@progbits
; Kernel info:
; codeLenInByte = 14284
; NumSgprs: 56
; NumVgprs: 250
; ScratchSize: 0
; MemoryBound: 0
; FloatMode: 240
; IeeeMode: 1
; LDSByteSize: 0 bytes/workgroup (compile time only)
; SGPRBlocks: 6
; VGPRBlocks: 31
; NumSGPRsForWavesPerEU: 56
; NumVGPRsForWavesPerEU: 250
; Occupancy: 5
; WaveLimiterHint : 1
; COMPUTE_PGM_RSRC2:SCRATCH_EN: 0
; COMPUTE_PGM_RSRC2:USER_SGPR: 2
; COMPUTE_PGM_RSRC2:TRAP_HANDLER: 0
; COMPUTE_PGM_RSRC2:TGID_X_EN: 1
; COMPUTE_PGM_RSRC2:TGID_Y_EN: 0
; COMPUTE_PGM_RSRC2:TGID_Z_EN: 0
; COMPUTE_PGM_RSRC2:TIDIG_COMP_CNT: 0
	.text
	.p2alignl 7, 3214868480
	.fill 96, 4, 3214868480
	.type	__hip_cuid_331f7dc03a6dfc5b,@object ; @__hip_cuid_331f7dc03a6dfc5b
	.section	.bss,"aw",@nobits
	.globl	__hip_cuid_331f7dc03a6dfc5b
__hip_cuid_331f7dc03a6dfc5b:
	.byte	0                               ; 0x0
	.size	__hip_cuid_331f7dc03a6dfc5b, 1

	.ident	"AMD clang version 19.0.0git (https://github.com/RadeonOpenCompute/llvm-project roc-6.4.0 25133 c7fe45cf4b819c5991fe208aaa96edf142730f1d)"
	.section	".note.GNU-stack","",@progbits
	.addrsig
	.addrsig_sym __hip_cuid_331f7dc03a6dfc5b
	.amdgpu_metadata
---
amdhsa.kernels:
  - .args:
      - .actual_access:  read_only
        .address_space:  global
        .offset:         0
        .size:           8
        .value_kind:     global_buffer
      - .offset:         8
        .size:           8
        .value_kind:     by_value
      - .actual_access:  read_only
        .address_space:  global
        .offset:         16
        .size:           8
        .value_kind:     global_buffer
      - .actual_access:  read_only
        .address_space:  global
        .offset:         24
        .size:           8
        .value_kind:     global_buffer
      - .offset:         32
        .size:           8
        .value_kind:     by_value
      - .actual_access:  read_only
        .address_space:  global
        .offset:         40
        .size:           8
        .value_kind:     global_buffer
      - .actual_access:  read_only
        .address_space:  global
        .offset:         48
        .size:           8
        .value_kind:     global_buffer
      - .offset:         56
        .size:           4
        .value_kind:     by_value
      - .actual_access:  read_only
        .address_space:  global
        .offset:         64
        .size:           8
        .value_kind:     global_buffer
      - .actual_access:  read_only
        .address_space:  global
        .offset:         72
        .size:           8
        .value_kind:     global_buffer
      - .address_space:  global
        .offset:         80
        .size:           8
        .value_kind:     global_buffer
    .group_segment_fixed_size: 0
    .kernarg_segment_align: 8
    .kernarg_segment_size: 88
    .language:       OpenCL C
    .language_version:
      - 2
      - 0
    .max_flat_workgroup_size: 238
    .name:           fft_rtc_fwd_len510_factors_17_2_3_5_wgs_238_tpt_34_halfLds_dp_ip_CI_unitstride_sbrr_R2C_dirReg
    .private_segment_fixed_size: 0
    .sgpr_count:     56
    .sgpr_spill_count: 0
    .symbol:         fft_rtc_fwd_len510_factors_17_2_3_5_wgs_238_tpt_34_halfLds_dp_ip_CI_unitstride_sbrr_R2C_dirReg.kd
    .uniform_work_group_size: 1
    .uses_dynamic_stack: false
    .vgpr_count:     250
    .vgpr_spill_count: 0
    .wavefront_size: 32
    .workgroup_processor_mode: 1
amdhsa.target:   amdgcn-amd-amdhsa--gfx1201
amdhsa.version:
  - 1
  - 2
...

	.end_amdgpu_metadata
